;; amdgpu-corpus repo=ROCm/rocFFT kind=compiled arch=gfx906 opt=O3
	.text
	.amdgcn_target "amdgcn-amd-amdhsa--gfx906"
	.amdhsa_code_object_version 6
	.protected	bluestein_single_fwd_len1584_dim1_half_op_CI_CI ; -- Begin function bluestein_single_fwd_len1584_dim1_half_op_CI_CI
	.globl	bluestein_single_fwd_len1584_dim1_half_op_CI_CI
	.p2align	8
	.type	bluestein_single_fwd_len1584_dim1_half_op_CI_CI,@function
bluestein_single_fwd_len1584_dim1_half_op_CI_CI: ; @bluestein_single_fwd_len1584_dim1_half_op_CI_CI
; %bb.0:
	s_load_dwordx4 s[8:11], s[4:5], 0x28
	v_mul_u32_u24_e32 v1, 0x175, v0
	v_add_u32_sdwa v12, s6, v1 dst_sel:DWORD dst_unused:UNUSED_PAD src0_sel:DWORD src1_sel:WORD_1
	v_mov_b32_e32 v13, 0
	s_waitcnt lgkmcnt(0)
	v_cmp_gt_u64_e32 vcc, s[8:9], v[12:13]
	s_and_saveexec_b64 s[0:1], vcc
	s_cbranch_execz .LBB0_39
; %bb.1:
	s_load_dwordx4 s[12:15], s[4:5], 0x18
	s_load_dwordx2 s[16:17], s[4:5], 0x0
	s_movk_i32 s6, 0xb0
	v_mul_lo_u16_sdwa v1, v1, s6 dst_sel:DWORD dst_unused:UNUSED_PAD src0_sel:WORD_1 src1_sel:DWORD
	v_sub_u16_e32 v41, v0, v1
	s_waitcnt lgkmcnt(0)
	s_load_dwordx4 s[0:3], s[12:13], 0x0
	v_lshlrev_b32_e32 v33, 2, v41
	global_load_dword v42, v33, s[16:17]
	global_load_dword v40, v33, s[16:17] offset:1584
	s_movk_i32 s8, 0x1000
	s_waitcnt lgkmcnt(0)
	v_mad_u64_u32 v[0:1], s[6:7], s2, v12, 0
	v_mad_u64_u32 v[2:3], s[6:7], s0, v41, 0
	s_mul_i32 s6, s1, 0x18c
	s_mul_hi_u32 s7, s0, 0x18c
	v_mad_u64_u32 v[4:5], s[2:3], s3, v12, v[1:2]
	s_add_i32 s7, s7, s6
	s_mul_i32 s6, s0, 0x18c
	v_mad_u64_u32 v[5:6], s[2:3], s1, v41, v[3:4]
	v_mov_b32_e32 v1, v4
	v_lshlrev_b64 v[0:1], 2, v[0:1]
	v_mov_b32_e32 v6, s11
	v_mov_b32_e32 v3, v5
	v_add_co_u32_e32 v4, vcc, s10, v0
	v_addc_co_u32_e32 v5, vcc, v6, v1, vcc
	v_lshlrev_b64 v[0:1], 2, v[2:3]
	v_mov_b32_e32 v2, s17
	v_add_co_u32_e32 v0, vcc, v4, v0
	v_add_co_u32_e64 v10, s[2:3], s16, v33
	v_addc_co_u32_e32 v1, vcc, v5, v1, vcc
	v_addc_co_u32_e64 v11, vcc, 0, v2, s[2:3]
	s_lshl_b64 s[6:7], s[6:7], 2
	v_mov_b32_e32 v6, s7
	v_add_co_u32_e32 v2, vcc, s6, v0
	v_addc_co_u32_e32 v3, vcc, v1, v6, vcc
	global_load_dword v39, v33, s[16:17] offset:3168
	global_load_dword v7, v[0:1], off
	global_load_dword v8, v[2:3], off
	v_add_co_u32_e32 v4, vcc, s6, v2
	v_addc_co_u32_e32 v5, vcc, v3, v6, vcc
	v_add_co_u32_e32 v2, vcc, s6, v4
	v_addc_co_u32_e32 v3, vcc, v5, v6, vcc
	global_load_dword v9, v[4:5], off
	global_load_dword v13, v[2:3], off
	v_add_co_u32_e32 v0, vcc, s8, v10
	v_addc_co_u32_e32 v1, vcc, 0, v11, vcc
	s_mul_hi_u32 s8, s0, 0xfffffc0c
	global_load_dword v38, v[0:1], off offset:656
	s_mulk_i32 s1, 0xfc0c
	s_sub_i32 s8, s8, s0
	s_add_i32 s1, s8, s1
	s_mulk_i32 s0, 0xfc0c
	s_lshl_b64 s[18:19], s[0:1], 2
	v_mov_b32_e32 v4, s19
	v_add_co_u32_e32 v2, vcc, s18, v2
	v_addc_co_u32_e32 v3, vcc, v3, v4, vcc
	global_load_dword v4, v[2:3], off
	global_load_dword v35, v33, s[16:17] offset:3872
	global_load_dword v36, v33, s[16:17] offset:2288
	;; [unrolled: 1-line block ×3, first 2 shown]
	v_add_co_u32_e32 v2, vcc, s6, v2
	v_addc_co_u32_e32 v3, vcc, v3, v6, vcc
	global_load_dword v5, v[2:3], off
	v_add_co_u32_e32 v2, vcc, s6, v2
	v_addc_co_u32_e32 v3, vcc, v3, v6, vcc
	global_load_dword v14, v[2:3], off
	;; [unrolled: 3-line block ×3, first 2 shown]
	global_load_dword v34, v[0:1], off offset:1360
	s_load_dwordx2 s[12:13], s[4:5], 0x38
	s_load_dwordx4 s[8:11], s[14:15], 0x0
	v_cmp_gt_u16_e64 s[0:1], 44, v41
	s_waitcnt vmcnt(12)
	v_lshrrev_b32_e32 v15, 16, v7
	v_mul_f16_sdwa v16, v42, v7 dst_sel:DWORD dst_unused:UNUSED_PAD src0_sel:WORD_1 src1_sel:DWORD
	v_fma_f16 v16, v42, v15, -v16
	v_mul_f16_sdwa v15, v42, v15 dst_sel:DWORD dst_unused:UNUSED_PAD src0_sel:WORD_1 src1_sel:DWORD
	s_waitcnt vmcnt(11)
	v_lshrrev_b32_e32 v17, 16, v8
	v_fma_f16 v7, v42, v7, v15
	v_mul_f16_sdwa v15, v40, v17 dst_sel:DWORD dst_unused:UNUSED_PAD src0_sel:WORD_1 src1_sel:DWORD
	v_fma_f16 v15, v40, v8, v15
	v_mul_f16_sdwa v8, v40, v8 dst_sel:DWORD dst_unused:UNUSED_PAD src0_sel:WORD_1 src1_sel:DWORD
	v_fma_f16 v8, v40, v17, -v8
	v_pack_b32_f16 v8, v15, v8
	ds_write_b32 v33, v8 offset:1584
	s_waitcnt vmcnt(10)
	v_lshrrev_b32_e32 v8, 16, v9
	v_mul_f16_sdwa v15, v39, v8 dst_sel:DWORD dst_unused:UNUSED_PAD src0_sel:WORD_1 src1_sel:DWORD
	v_fma_f16 v15, v39, v9, v15
	v_mul_f16_sdwa v9, v39, v9 dst_sel:DWORD dst_unused:UNUSED_PAD src0_sel:WORD_1 src1_sel:DWORD
	v_fma_f16 v8, v39, v8, -v9
	v_pack_b32_f16 v8, v15, v8
	ds_write_b32 v33, v8 offset:3168
	s_waitcnt vmcnt(9)
	v_lshrrev_b32_e32 v8, 16, v13
	s_waitcnt vmcnt(8)
	v_mul_f16_sdwa v9, v38, v8 dst_sel:DWORD dst_unused:UNUSED_PAD src0_sel:WORD_1 src1_sel:DWORD
	v_fma_f16 v9, v38, v13, v9
	v_mul_f16_sdwa v13, v38, v13 dst_sel:DWORD dst_unused:UNUSED_PAD src0_sel:WORD_1 src1_sel:DWORD
	v_fma_f16 v8, v38, v8, -v13
	v_pack_b32_f16 v8, v9, v8
	ds_write_b32 v33, v8 offset:4752
	s_waitcnt vmcnt(7)
	v_lshrrev_b32_e32 v8, 16, v4
	s_waitcnt vmcnt(4)
	v_mul_f16_sdwa v9, v37, v8 dst_sel:DWORD dst_unused:UNUSED_PAD src0_sel:WORD_1 src1_sel:DWORD
	v_fma_f16 v9, v37, v4, v9
	v_mul_f16_sdwa v4, v37, v4 dst_sel:DWORD dst_unused:UNUSED_PAD src0_sel:WORD_1 src1_sel:DWORD
	v_fma_f16 v4, v37, v8, -v4
	v_pack_b32_f16 v7, v7, v16
	v_pack_b32_f16 v4, v9, v4
	ds_write2_b32 v33, v7, v4 offset1:176
	s_waitcnt vmcnt(3)
	v_lshrrev_b32_e32 v4, 16, v5
	v_mul_f16_sdwa v7, v36, v4 dst_sel:DWORD dst_unused:UNUSED_PAD src0_sel:WORD_1 src1_sel:DWORD
	v_fma_f16 v7, v36, v5, v7
	v_mul_f16_sdwa v5, v36, v5 dst_sel:DWORD dst_unused:UNUSED_PAD src0_sel:WORD_1 src1_sel:DWORD
	v_fma_f16 v4, v36, v4, -v5
	v_pack_b32_f16 v4, v7, v4
	ds_write_b32 v33, v4 offset:2288
	s_waitcnt vmcnt(2)
	v_lshrrev_b32_e32 v4, 16, v14
	v_mul_f16_sdwa v5, v35, v4 dst_sel:DWORD dst_unused:UNUSED_PAD src0_sel:WORD_1 src1_sel:DWORD
	v_mul_f16_sdwa v7, v35, v14 dst_sel:DWORD dst_unused:UNUSED_PAD src0_sel:WORD_1 src1_sel:DWORD
	v_fma_f16 v5, v35, v14, v5
	v_fma_f16 v4, v35, v4, -v7
	v_pack_b32_f16 v4, v5, v4
	ds_write_b32 v33, v4 offset:3872
	s_waitcnt vmcnt(1)
	v_lshrrev_b32_e32 v4, 16, v6
	s_waitcnt vmcnt(0)
	v_mul_f16_sdwa v5, v34, v4 dst_sel:DWORD dst_unused:UNUSED_PAD src0_sel:WORD_1 src1_sel:DWORD
	v_fma_f16 v5, v34, v6, v5
	v_mul_f16_sdwa v6, v34, v6 dst_sel:DWORD dst_unused:UNUSED_PAD src0_sel:WORD_1 src1_sel:DWORD
	v_fma_f16 v4, v34, v4, -v6
	v_pack_b32_f16 v4, v5, v4
	ds_write_b32 v33, v4 offset:5456
	s_and_saveexec_b64 s[14:15], s[0:1]
	s_cbranch_execz .LBB0_3
; %bb.2:
	v_mov_b32_e32 v4, s19
	v_add_co_u32_e32 v2, vcc, s18, v2
	v_addc_co_u32_e32 v3, vcc, v3, v4, vcc
	global_load_dword v4, v[2:3], off
	global_load_dword v5, v[10:11], off offset:1408
	v_mov_b32_e32 v6, s7
	v_add_co_u32_e32 v2, vcc, s6, v2
	v_addc_co_u32_e32 v3, vcc, v3, v6, vcc
	global_load_dword v7, v[2:3], off
	global_load_dword v8, v[10:11], off offset:2992
	v_add_co_u32_e32 v2, vcc, s6, v2
	v_addc_co_u32_e32 v3, vcc, v3, v6, vcc
	global_load_dword v9, v[2:3], off
	global_load_dword v13, v[0:1], off offset:480
	;; [unrolled: 4-line block ×3, first 2 shown]
	s_waitcnt vmcnt(7)
	v_lshrrev_b32_e32 v0, 16, v4
	s_waitcnt vmcnt(6)
	v_mul_f16_sdwa v1, v5, v4 dst_sel:DWORD dst_unused:UNUSED_PAD src0_sel:WORD_1 src1_sel:DWORD
	v_mul_f16_sdwa v2, v5, v0 dst_sel:DWORD dst_unused:UNUSED_PAD src0_sel:WORD_1 src1_sel:DWORD
	v_fma_f16 v0, v5, v0, -v1
	v_fma_f16 v2, v5, v4, v2
	v_pack_b32_f16 v0, v2, v0
	s_waitcnt vmcnt(5)
	v_lshrrev_b32_e32 v1, 16, v7
	s_waitcnt vmcnt(4)
	v_mul_f16_sdwa v3, v8, v7 dst_sel:DWORD dst_unused:UNUSED_PAD src0_sel:WORD_1 src1_sel:DWORD
	v_mul_f16_sdwa v4, v8, v1 dst_sel:DWORD dst_unused:UNUSED_PAD src0_sel:WORD_1 src1_sel:DWORD
	v_fma_f16 v1, v8, v1, -v3
	v_fma_f16 v2, v8, v7, v4
	s_waitcnt vmcnt(3)
	v_lshrrev_b32_e32 v3, 16, v9
	s_waitcnt vmcnt(2)
	v_mul_f16_sdwa v5, v13, v9 dst_sel:DWORD dst_unused:UNUSED_PAD src0_sel:WORD_1 src1_sel:DWORD
	v_mul_f16_sdwa v4, v13, v3 dst_sel:DWORD dst_unused:UNUSED_PAD src0_sel:WORD_1 src1_sel:DWORD
	v_fma_f16 v3, v13, v3, -v5
	ds_write_b32 v33, v0 offset:1408
	s_waitcnt vmcnt(1)
	v_lshrrev_b32_e32 v5, 16, v6
	s_waitcnt vmcnt(0)
	v_mul_f16_sdwa v7, v14, v6 dst_sel:DWORD dst_unused:UNUSED_PAD src0_sel:WORD_1 src1_sel:DWORD
	v_pack_b32_f16 v0, v2, v1
	v_fma_f16 v1, v13, v9, v4
	v_mul_f16_sdwa v2, v14, v5 dst_sel:DWORD dst_unused:UNUSED_PAD src0_sel:WORD_1 src1_sel:DWORD
	v_fma_f16 v4, v14, v5, -v7
	ds_write_b32 v33, v0 offset:2992
	v_pack_b32_f16 v0, v1, v3
	v_fma_f16 v1, v14, v6, v2
	ds_write_b32 v33, v0 offset:4576
	v_pack_b32_f16 v0, v1, v4
	ds_write_b32 v33, v0 offset:6160
.LBB0_3:
	s_or_b64 exec, exec, s[14:15]
	v_add_u32_e32 v2, 0x600, v33
	v_add_u32_e32 v4, 0xc00, v33
	;; [unrolled: 1-line block ×3, first 2 shown]
	s_waitcnt lgkmcnt(0)
	s_barrier
	ds_read2_b32 v[0:1], v33 offset1:176
	ds_read2_b32 v[2:3], v2 offset0:12 offset1:188
	ds_read2_b32 v[4:5], v4 offset0:24 offset1:200
	;; [unrolled: 1-line block ×3, first 2 shown]
                                        ; implicit-def: $vgpr8
                                        ; implicit-def: $vgpr13
                                        ; implicit-def: $vgpr9
                                        ; implicit-def: $vgpr14
	s_and_saveexec_b64 s[6:7], s[0:1]
	s_cbranch_execz .LBB0_5
; %bb.4:
	ds_read_b32 v8, v33 offset:1408
	ds_read_b32 v9, v33 offset:2992
	;; [unrolled: 1-line block ×4, first 2 shown]
.LBB0_5:
	s_or_b64 exec, exec, s[6:7]
	s_waitcnt lgkmcnt(1)
	v_pk_add_f16 v4, v0, v4 neg_lo:[0,1] neg_hi:[0,1]
	s_waitcnt lgkmcnt(0)
	v_pk_add_f16 v15, v2, v6 neg_lo:[0,1] neg_hi:[0,1]
	v_lshrrev_b32_e32 v6, 16, v4
	v_add_f16_e32 v18, v6, v15
	v_pk_add_f16 v5, v1, v5 neg_lo:[0,1] neg_hi:[0,1]
	v_pk_fma_f16 v0, v0, 2.0, v4 op_sel_hi:[1,0,1] neg_lo:[0,0,1] neg_hi:[0,0,1]
	v_pk_fma_f16 v2, v2, 2.0, v15 op_sel_hi:[1,0,1] neg_lo:[0,0,1] neg_hi:[0,0,1]
	s_load_dwordx2 s[14:15], s[4:5], 0x8
	v_sub_f16_sdwa v16, v4, v15 dst_sel:DWORD dst_unused:UNUSED_PAD src0_sel:DWORD src1_sel:WORD_1
	v_fma_f16 v22, v6, 2.0, -v18
	v_pk_add_f16 v7, v3, v7 neg_lo:[0,1] neg_hi:[0,1]
	v_lshrrev_b32_e32 v6, 16, v5
	v_pk_add_f16 v13, v8, v13 neg_lo:[0,1] neg_hi:[0,1]
	v_pk_add_f16 v20, v0, v2 neg_lo:[0,1] neg_hi:[0,1]
	v_add_f16_e32 v24, v6, v7
	v_pk_add_f16 v14, v9, v14 neg_lo:[0,1] neg_hi:[0,1]
	v_pack_b32_f16 v21, v16, v18
	v_lshrrev_b32_e32 v2, 16, v13
	v_pk_fma_f16 v18, v0, 2.0, v20 op_sel_hi:[1,0,1] neg_lo:[0,0,1] neg_hi:[0,0,1]
	v_lshlrev_b16_e32 v0, 2, v41
	s_movk_i32 s4, 0x160
	v_sub_f16_sdwa v23, v5, v7 dst_sel:DWORD dst_unused:UNUSED_PAD src0_sel:DWORD src1_sel:WORD_1
	v_fma_f16 v27, v6, 2.0, -v24
	v_pk_fma_f16 v6, v8, 2.0, v13 op_sel_hi:[1,0,1] neg_lo:[0,0,1] neg_hi:[0,0,1]
	v_pk_fma_f16 v8, v9, 2.0, v14 op_sel_hi:[1,0,1] neg_lo:[0,0,1] neg_hi:[0,0,1]
	v_add_f16_e32 v49, v14, v2
	v_lshlrev_b32_e32 v47, 2, v0
	v_pk_fma_f16 v0, v1, 2.0, v5 op_sel_hi:[1,0,1] neg_lo:[0,0,1] neg_hi:[0,0,1]
	v_pk_fma_f16 v1, v3, 2.0, v7 op_sel_hi:[1,0,1] neg_lo:[0,0,1] neg_hi:[0,0,1]
	v_add_co_u32_e32 v17, vcc, 0xb0, v41
	v_add_co_u32_e32 v25, vcc, s4, v41
	v_fma_f16 v19, v4, 2.0, -v16
	v_fma_f16 v26, v5, 2.0, -v23
	v_pk_add_f16 v8, v6, v8 neg_lo:[0,1] neg_hi:[0,1]
	v_sub_f16_sdwa v48, v13, v14 dst_sel:DWORD dst_unused:UNUSED_PAD src0_sel:DWORD src1_sel:WORD_1
	v_fma_f16 v16, v2, 2.0, -v49
	v_pk_add_f16 v2, v0, v1 neg_lo:[0,1] neg_hi:[0,1]
	v_pk_fma_f16 v6, v6, 2.0, v8 op_sel_hi:[1,0,1] neg_lo:[0,0,1] neg_hi:[0,0,1]
	v_fma_f16 v15, v13, 2.0, -v48
	v_pack_b32_f16 v19, v19, v22
	v_lshlrev_b32_e32 v46, 4, v17
	v_pk_fma_f16 v0, v0, 2.0, v2 op_sel_hi:[1,0,1] neg_lo:[0,0,1] neg_hi:[0,0,1]
	v_pack_b32_f16 v3, v23, v24
	v_pack_b32_f16 v1, v26, v27
	v_lshlrev_b32_e32 v45, 4, v25
	s_waitcnt lgkmcnt(0)
	s_barrier
	ds_write_b128 v47, v[18:21]
	ds_write_b128 v46, v[0:3]
	s_and_saveexec_b64 s[4:5], s[0:1]
	s_cbranch_execz .LBB0_7
; %bb.6:
	s_mov_b32 s6, 0x5040100
	v_perm_b32 v9, v49, v48, s6
	v_perm_b32 v7, v16, v15, s6
	ds_write_b128 v45, v[6:9]
.LBB0_7:
	s_or_b64 exec, exec, s[4:5]
	v_add_u32_e32 v2, 0xc00, v33
	s_waitcnt lgkmcnt(0)
	s_barrier
	ds_read2_b32 v[4:5], v2 offset0:24 offset1:200
	v_add_u32_e32 v2, 0x500, v33
	v_add_u32_e32 v7, 0x1100, v33
	ds_read2_b32 v[0:1], v33 offset1:176
	ds_read2_b32 v[2:3], v2 offset0:32 offset1:208
	ds_read2_b32 v[13:14], v7 offset0:56 offset1:232
	s_movk_i32 s4, 0x58
	v_cmp_gt_u16_e32 vcc, s4, v41
	s_and_saveexec_b64 s[4:5], vcc
	s_cbranch_execz .LBB0_9
; %bb.8:
	ds_read_b32 v15, v33 offset:5984
	ds_read_b32 v6, v33 offset:2816
	s_waitcnt lgkmcnt(1)
	v_lshrrev_b32_e32 v16, 16, v15
.LBB0_9:
	s_or_b64 exec, exec, s[4:5]
	v_and_b32_e32 v31, 3, v41
	v_lshlrev_b32_e32 v7, 2, v31
	global_load_dword v32, v7, s[14:15]
	v_lshlrev_b32_e32 v9, 1, v41
	s_movk_i32 s7, 0x1f8
	v_lshlrev_b32_e32 v26, 1, v17
	s_movk_i32 s16, 0x3f8
	s_movk_i32 s6, 0x7f8
	v_and_or_b32 v28, v9, s7, v31
	v_add_u32_e32 v60, 0x420, v9
	s_waitcnt lgkmcnt(3)
	v_lshrrev_b32_e32 v18, 16, v4
	s_waitcnt lgkmcnt(0)
	v_lshrrev_b32_e32 v22, 16, v13
	v_lshlrev_b32_e32 v43, 1, v25
	v_and_or_b32 v29, v26, s16, v31
	v_lshlrev_b32_e32 v52, 2, v28
	v_and_or_b32 v28, v60, s6, v31
	v_lshrrev_b32_e32 v20, 16, v5
	v_lshrrev_b32_e32 v24, 16, v14
	v_and_or_b32 v30, v43, s6, v31
	v_lshlrev_b32_e32 v51, 2, v29
	v_lshlrev_b32_e32 v54, 2, v28
	v_lshrrev_b32_e32 v7, 16, v0
	v_lshlrev_b32_e32 v50, 2, v30
	v_lshrrev_b32_e32 v19, 16, v1
	v_lshrrev_b32_e32 v21, 16, v2
	;; [unrolled: 1-line block ×3, first 2 shown]
	s_movk_i32 s4, 0x2c0
	v_lshrrev_b32_e32 v27, 16, v6
	v_add_co_u32_e64 v17, s[4:5], s4, v41
	s_waitcnt vmcnt(0)
	s_barrier
	v_mul_f16_sdwa v28, v18, v32 dst_sel:DWORD dst_unused:UNUSED_PAD src0_sel:DWORD src1_sel:WORD_1
	v_mul_f16_sdwa v29, v4, v32 dst_sel:DWORD dst_unused:UNUSED_PAD src0_sel:DWORD src1_sel:WORD_1
	;; [unrolled: 1-line block ×10, first 2 shown]
	v_fma_f16 v4, v4, v32, -v28
	v_fma_f16 v13, v13, v32, -v53
	v_fma_f16 v18, v18, v32, v29
	v_fma_f16 v5, v5, v32, -v30
	v_fma_f16 v14, v14, v32, -v56
	v_fma_f16 v20, v20, v32, v44
	v_fma_f16 v22, v22, v32, v55
	;; [unrolled: 1-line block ×3, first 2 shown]
	v_fma_f16 v15, v15, v32, -v58
	v_fma_f16 v16, v16, v32, v59
	v_sub_f16_e32 v4, v0, v4
	v_sub_f16_e32 v28, v2, v13
	;; [unrolled: 1-line block ×10, first 2 shown]
	v_fma_f16 v0, v0, 2.0, -v4
	v_fma_f16 v7, v7, 2.0, -v13
	;; [unrolled: 1-line block ×8, first 2 shown]
	v_pack_b32_f16 v4, v4, v13
	v_fma_f16 v13, v6, 2.0, -v15
	v_fma_f16 v14, v27, 2.0, -v16
	v_pack_b32_f16 v0, v0, v7
	v_lshlrev_b32_e32 v44, 1, v17
	v_pack_b32_f16 v5, v5, v18
	v_pack_b32_f16 v6, v28, v20
	v_pack_b32_f16 v18, v29, v22
	v_pack_b32_f16 v1, v1, v19
	v_pack_b32_f16 v2, v2, v21
	v_pack_b32_f16 v3, v3, v23
	ds_write2_b32 v52, v0, v4 offset1:4
	ds_write2_b32 v51, v1, v5 offset1:4
	;; [unrolled: 1-line block ×4, first 2 shown]
	s_and_saveexec_b64 s[4:5], vcc
	s_cbranch_execz .LBB0_11
; %bb.10:
	v_and_or_b32 v0, v44, s6, v31
	s_mov_b32 s6, 0x5040100
	v_lshlrev_b32_e32 v0, 2, v0
	v_perm_b32 v1, v14, v13, s6
	v_perm_b32 v2, v16, v15, s6
	ds_write2_b32 v0, v1, v2 offset1:4
.LBB0_11:
	s_or_b64 exec, exec, s[4:5]
	v_add_u32_e32 v0, 0xc00, v33
	s_waitcnt lgkmcnt(0)
	s_barrier
	ds_read2_b32 v[6:7], v0 offset0:24 offset1:200
	v_add_u32_e32 v0, 0x500, v33
	v_add_u32_e32 v4, 0x1100, v33
	ds_read2_b32 v[2:3], v33 offset1:176
	ds_read2_b32 v[0:1], v0 offset0:32 offset1:208
	ds_read2_b32 v[4:5], v4 offset0:56 offset1:232
	s_and_saveexec_b64 s[4:5], vcc
	s_cbranch_execz .LBB0_13
; %bb.12:
	ds_read_b32 v13, v33 offset:2816
	ds_read_b32 v15, v33 offset:5984
	s_waitcnt lgkmcnt(1)
	v_lshrrev_b32_e32 v14, 16, v13
	s_waitcnt lgkmcnt(0)
	v_lshrrev_b32_e32 v16, 16, v15
.LBB0_13:
	s_or_b64 exec, exec, s[4:5]
	v_and_b32_e32 v53, 7, v41
	v_lshlrev_b32_e32 v27, 2, v53
	global_load_dword v55, v27, s[14:15] offset:16
	s_waitcnt lgkmcnt(3)
	v_lshrrev_b32_e32 v18, 16, v6
	v_lshrrev_b32_e32 v20, 16, v7
	s_waitcnt lgkmcnt(0)
	v_lshrrev_b32_e32 v22, 16, v4
	v_lshrrev_b32_e32 v24, 16, v5
	;; [unrolled: 1-line block ×5, first 2 shown]
	s_movk_i32 s4, 0x1f0
	v_lshrrev_b32_e32 v23, 16, v1
	s_waitcnt vmcnt(0)
	s_barrier
	s_movk_i32 s6, 0x7f0
	v_mul_f16_sdwa v27, v18, v55 dst_sel:DWORD dst_unused:UNUSED_PAD src0_sel:DWORD src1_sel:WORD_1
	v_fma_f16 v27, v6, v55, -v27
	v_mul_f16_sdwa v6, v6, v55 dst_sel:DWORD dst_unused:UNUSED_PAD src0_sel:DWORD src1_sel:WORD_1
	v_fma_f16 v6, v18, v55, v6
	v_mul_f16_sdwa v18, v20, v55 dst_sel:DWORD dst_unused:UNUSED_PAD src0_sel:DWORD src1_sel:WORD_1
	v_fma_f16 v18, v7, v55, -v18
	v_mul_f16_sdwa v7, v7, v55 dst_sel:DWORD dst_unused:UNUSED_PAD src0_sel:DWORD src1_sel:WORD_1
	v_fma_f16 v7, v20, v55, v7
	v_mul_f16_sdwa v20, v22, v55 dst_sel:DWORD dst_unused:UNUSED_PAD src0_sel:DWORD src1_sel:WORD_1
	v_fma_f16 v20, v4, v55, -v20
	v_mul_f16_sdwa v4, v4, v55 dst_sel:DWORD dst_unused:UNUSED_PAD src0_sel:DWORD src1_sel:WORD_1
	v_fma_f16 v4, v22, v55, v4
	v_mul_f16_sdwa v22, v24, v55 dst_sel:DWORD dst_unused:UNUSED_PAD src0_sel:DWORD src1_sel:WORD_1
	v_fma_f16 v22, v5, v55, -v22
	v_mul_f16_sdwa v5, v5, v55 dst_sel:DWORD dst_unused:UNUSED_PAD src0_sel:DWORD src1_sel:WORD_1
	v_fma_f16 v5, v24, v55, v5
	v_mul_f16_sdwa v24, v16, v55 dst_sel:DWORD dst_unused:UNUSED_PAD src0_sel:DWORD src1_sel:WORD_1
	v_fma_f16 v24, v15, v55, -v24
	v_mul_f16_sdwa v15, v15, v55 dst_sel:DWORD dst_unused:UNUSED_PAD src0_sel:DWORD src1_sel:WORD_1
	v_fma_f16 v57, v16, v55, v15
	v_sub_f16_e32 v16, v2, v27
	v_sub_f16_e32 v28, v17, v6
	v_sub_f16_e32 v29, v19, v7
	v_sub_f16_e32 v20, v0, v20
	v_fma_f16 v15, v2, 2.0, -v16
	v_fma_f16 v27, v17, 2.0, -v28
	;; [unrolled: 1-line block ×3, first 2 shown]
	v_sub_f16_e32 v61, v21, v4
	v_fma_f16 v19, v0, 2.0, -v20
	v_sub_f16_e32 v22, v1, v22
	v_and_or_b32 v0, v9, s4, v53
	v_sub_f16_e32 v18, v3, v18
	v_fma_f16 v56, v21, 2.0, -v61
	v_fma_f16 v21, v1, 2.0, -v22
	v_sub_f16_e32 v63, v14, v57
	v_lshlrev_b32_e32 v57, 2, v0
	v_pack_b32_f16 v0, v15, v27
	v_pack_b32_f16 v1, v16, v28
	s_movk_i32 s4, 0x3f0
	v_fma_f16 v17, v3, 2.0, -v18
	ds_write2_b32 v57, v0, v1 offset1:8
	v_and_or_b32 v0, v26, s4, v53
	v_lshlrev_b32_e32 v58, 2, v0
	v_pack_b32_f16 v0, v17, v30
	v_pack_b32_f16 v1, v18, v29
	ds_write2_b32 v58, v0, v1 offset1:8
	v_and_or_b32 v0, v43, s6, v53
	v_sub_f16_e32 v62, v23, v5
	v_lshlrev_b32_e32 v59, 2, v0
	v_pack_b32_f16 v0, v19, v56
	v_pack_b32_f16 v1, v20, v61
	v_fma_f16 v64, v23, 2.0, -v62
	v_sub_f16_e32 v24, v13, v24
	ds_write2_b32 v59, v0, v1 offset1:8
	v_and_or_b32 v0, v60, s6, v53
	v_fma_f16 v23, v13, 2.0, -v24
	v_fma_f16 v65, v14, 2.0, -v63
	v_lshlrev_b32_e32 v60, 2, v0
	v_pack_b32_f16 v0, v21, v64
	v_pack_b32_f16 v1, v22, v62
	ds_write2_b32 v60, v0, v1 offset1:8
	s_and_saveexec_b64 s[4:5], vcc
	s_cbranch_execz .LBB0_15
; %bb.14:
	v_and_or_b32 v0, v44, s6, v53
	s_mov_b32 s6, 0x5040100
	v_lshlrev_b32_e32 v0, 2, v0
	v_perm_b32 v1, v65, v23, s6
	v_perm_b32 v2, v63, v24, s6
	ds_write2_b32 v0, v1, v2 offset1:8
.LBB0_15:
	s_or_b64 exec, exec, s[4:5]
	s_movk_i32 s4, 0x90
	v_cmp_gt_u16_e64 s[4:5], s4, v41
	s_waitcnt lgkmcnt(0)
	s_barrier
	s_and_saveexec_b64 s[6:7], s[4:5]
	s_cbranch_execz .LBB0_17
; %bb.16:
	v_add_u32_e32 v0, 0x400, v33
	ds_read2_b32 v[17:18], v0 offset0:32 offset1:176
	v_add_u32_e32 v0, 0x800, v33
	ds_read2_b32 v[19:20], v0 offset0:64 offset1:208
	;; [unrolled: 2-line block ×3, first 2 shown]
	v_add_u32_e32 v0, 0x1200, v33
	ds_read2_b32 v[15:16], v33 offset1:144
	ds_read2_b32 v[23:24], v0 offset1:144
	ds_read_b32 v8, v33 offset:5760
	s_waitcnt lgkmcnt(5)
	v_lshrrev_b32_e32 v30, 16, v17
	v_lshrrev_b32_e32 v29, 16, v18
	s_waitcnt lgkmcnt(2)
	v_lshrrev_b32_e32 v27, 16, v15
	v_lshrrev_b32_e32 v28, 16, v16
	;; [unrolled: 1-line block ×6, first 2 shown]
	s_waitcnt lgkmcnt(1)
	v_lshrrev_b32_e32 v65, 16, v23
	v_lshrrev_b32_e32 v63, 16, v24
.LBB0_17:
	s_or_b64 exec, exec, s[6:7]
	v_and_b32_e32 v43, 15, v41
	v_mad_u64_u32 v[66:67], s[6:7], v43, 40, s[14:15]
	s_waitcnt lgkmcnt(0)
	v_lshrrev_b32_e32 v72, 16, v8
	s_movk_i32 s16, 0x3abb
	global_load_dwordx4 v[0:3], v[66:67], off offset:48
	global_load_dwordx4 v[4:7], v[66:67], off offset:64
	global_load_dwordx2 v[13:14], v[66:67], off offset:80
	s_movk_i32 s18, 0x36a6
	s_mov_b32 s19, 0xb93d
	s_mov_b32 s20, 0xb08e
	;; [unrolled: 1-line block ×7, first 2 shown]
	s_movk_i32 s24, 0x3482
	s_movk_i32 s27, 0x3beb
	s_mov_b32 s26, 0xb482
	s_movk_i32 s28, 0x3853
	s_waitcnt vmcnt(0)
	s_barrier
	v_mul_f16_sdwa v66, v28, v0 dst_sel:DWORD dst_unused:UNUSED_PAD src0_sel:DWORD src1_sel:WORD_1
	v_mul_f16_sdwa v67, v16, v0 dst_sel:DWORD dst_unused:UNUSED_PAD src0_sel:DWORD src1_sel:WORD_1
	;; [unrolled: 1-line block ×14, first 2 shown]
	v_fma_f16 v66, v16, v0, -v66
	v_fma_f16 v16, v28, v0, v67
	v_fma_f16 v28, v17, v1, -v68
	v_fma_f16 v17, v30, v1, v69
	;; [unrolled: 2-line block ×4, first 2 shown]
	v_mul_f16_sdwa v79, v62, v6 dst_sel:DWORD dst_unused:UNUSED_PAD src0_sel:DWORD src1_sel:WORD_1
	v_mul_f16_sdwa v80, v22, v6 dst_sel:DWORD dst_unused:UNUSED_PAD src0_sel:DWORD src1_sel:WORD_1
	;; [unrolled: 1-line block ×3, first 2 shown]
	v_fma_f16 v67, v20, v4, -v75
	v_fma_f16 v20, v61, v4, v76
	v_fma_f16 v61, v21, v5, -v77
	v_fma_f16 v21, v64, v5, v78
	;; [unrolled: 2-line block ×3, first 2 shown]
	v_sub_f16_e32 v78, v66, v71
	v_sub_f16_e32 v93, v16, v8
	v_mul_f16_sdwa v73, v56, v3 dst_sel:DWORD dst_unused:UNUSED_PAD src0_sel:DWORD src1_sel:WORD_1
	v_mul_f16_sdwa v74, v19, v3 dst_sel:DWORD dst_unused:UNUSED_PAD src0_sel:DWORD src1_sel:WORD_1
	;; [unrolled: 1-line block ×3, first 2 shown]
	v_fma_f16 v68, v22, v6, -v79
	v_fma_f16 v22, v62, v6, v80
	v_fma_f16 v69, v23, v7, -v81
	v_add_f16_e32 v72, v66, v71
	v_add_f16_e32 v99, v16, v8
	v_sub_f16_e32 v80, v28, v70
	v_sub_f16_e32 v95, v17, v24
	v_mul_f16_e32 v79, 0xb853, v78
	v_mul_f16_e32 v83, 0xbb47, v93
	v_fma_f16 v29, v19, v3, -v73
	v_fma_f16 v19, v56, v3, v74
	v_fma_f16 v23, v65, v7, v82
	v_add_f16_e32 v74, v28, v70
	v_add_f16_e32 v100, v17, v24
	v_sub_f16_e32 v88, v30, v69
	v_mul_f16_e32 v73, 0xb853, v93
	v_mul_f16_e32 v81, 0xbb47, v80
	;; [unrolled: 1-line block ×3, first 2 shown]
	v_fma_f16 v62, v99, s16, -v79
	v_fma_f16 v63, v72, s18, v83
	v_add_f16_e32 v102, v18, v23
	v_sub_f16_e32 v96, v18, v23
	v_mul_f16_e32 v85, 0xbb47, v78
	v_mul_f16_e32 v75, 0xbb47, v95
	;; [unrolled: 1-line block ×3, first 2 shown]
	v_fma_f16 v56, v72, s16, v73
	v_fma_f16 v87, v100, s18, -v81
	v_fma_f16 v89, v74, s19, v84
	v_add_f16_e32 v62, v27, v62
	v_add_f16_e32 v63, v15, v63
	;; [unrolled: 1-line block ×3, first 2 shown]
	v_mul_f16_e32 v86, 0xba0c, v80
	v_fma_f16 v64, v99, s18, -v85
	v_fma_f16 v65, v74, s18, v75
	v_fma_f16 v92, v102, s20, -v82
	v_add_f16_e32 v56, v15, v56
	v_add_f16_e32 v62, v87, v62
	;; [unrolled: 1-line block ×3, first 2 shown]
	v_mul_f16_e32 v89, 0x3482, v96
	v_mul_f16_e32 v77, 0xbbeb, v96
	v_fma_f16 v90, v100, s19, -v86
	v_add_f16_e32 v64, v27, v64
	v_add_f16_e32 v56, v65, v56
	v_add_f16_e32 v62, v92, v62
	v_fma_f16 v65, v76, s21, v89
	v_mul_f16_e32 v92, 0x3482, v88
	v_sub_f16_e32 v108, v19, v22
	v_fma_f16 v91, v76, s20, v77
	v_add_f16_e32 v64, v90, v64
	v_add_f16_e32 v63, v65, v63
	v_fma_f16 v65, v102, s21, -v92
	v_add_f16_e32 v97, v29, v68
	v_mul_f16_e32 v87, 0xba0c, v108
	v_sub_f16_e32 v104, v29, v68
	v_add_f16_e32 v56, v91, v56
	v_add_f16_e32 v64, v65, v64
	v_fma_f16 v65, v97, s19, v87
	v_add_f16_e32 v110, v19, v22
	v_mul_f16_e32 v90, 0xba0c, v104
	v_add_f16_e32 v56, v65, v56
	v_fma_f16 v65, v110, s19, -v90
	v_mul_f16_e32 v94, 0x3beb, v108
	v_add_f16_e32 v65, v65, v62
	v_fma_f16 v62, v97, s20, v94
	v_mul_f16_e32 v101, 0x3beb, v104
	v_sub_f16_e32 v109, v20, v21
	v_add_f16_e32 v63, v62, v63
	v_fma_f16 v62, v110, s20, -v101
	v_add_f16_e32 v105, v67, v61
	v_mul_f16_e32 v91, 0xb482, v109
	v_sub_f16_e32 v107, v67, v61
	v_add_f16_e32 v112, v62, v64
	v_fma_f16 v62, v105, s21, v91
	v_add_f16_e32 v111, v20, v21
	v_mul_f16_e32 v98, 0xb482, v107
	v_add_f16_e32 v62, v62, v56
	v_fma_f16 v56, v111, s21, -v98
	v_mul_f16_e32 v103, 0x3853, v109
	v_add_f16_e32 v64, v56, v65
	v_fma_f16 v56, v105, s16, v103
	v_mul_f16_e32 v106, 0x3853, v107
	v_add_f16_e32 v63, v56, v63
	v_fma_f16 v56, v111, s16, -v106
	v_add_f16_e32 v65, v56, v112
	v_lshrrev_b32_e32 v56, 4, v41
	s_and_saveexec_b64 s[6:7], s[4:5]
	s_cbranch_execz .LBB0_19
; %bb.18:
	v_mul_f16_e32 v132, 0xb08e, v99
	v_fma_f16 v133, v78, s27, v132
	v_mul_f16_e32 v134, 0xbbad, v100
	v_add_f16_e32 v133, v27, v133
	v_fma_f16 v135, v80, s26, v134
	v_add_f16_e32 v133, v135, v133
	v_mul_f16_e32 v135, 0x36a6, v102
	v_fma_f16 v136, v88, s29, v135
	v_add_f16_e32 v133, v136, v133
	v_mul_f16_e32 v136, 0x3abb, v110
	;; [unrolled: 3-line block ×3, first 2 shown]
	s_movk_i32 s30, 0x3a0c
	v_fma_f16 v138, v107, s30, v137
	v_add_f16_e32 v133, v138, v133
	v_mul_f16_e32 v138, 0xbbeb, v93
	v_fma_f16 v139, v72, s20, v138
	v_mul_f16_e32 v140, 0x3482, v95
	v_add_f16_e32 v139, v15, v139
	v_fma_f16 v141, v74, s21, v140
	v_add_f16_e32 v139, v141, v139
	v_mul_f16_e32 v141, 0x3b47, v96
	v_fma_f16 v142, v76, s18, v141
	v_add_f16_e32 v139, v142, v139
	v_mul_f16_e32 v142, 0xb853, v108
	v_fma_f16 v143, v97, s16, v142
	v_add_f16_e32 v139, v143, v139
	v_mul_f16_e32 v143, 0xba0c, v109
	v_fma_f16 v144, v105, s19, v143
	v_add_f16_e32 v139, v144, v139
	v_mul_f16_e32 v144, 0xb93d, v99
	v_fma_f16 v145, v78, s30, v144
	v_mul_f16_e32 v146, 0xb08e, v100
	v_add_f16_e32 v145, v27, v145
	v_fma_f16 v147, v80, s25, v146
	v_add_f16_e32 v145, v147, v145
	v_mul_f16_e32 v147, 0x3abb, v102
	v_fma_f16 v148, v88, s28, v147
	v_add_f16_e32 v145, v148, v145
	v_mul_f16_e32 v148, 0xbbad, v110
	v_fma_f16 v149, v104, s24, v148
	v_add_f16_e32 v145, v149, v145
	v_mul_f16_e32 v149, 0x36a6, v111
	;; [unrolled: 15-line block ×3, first 2 shown]
	v_mul_f16_e32 v113, 0x3abb, v99
	v_mul_f16_e32 v115, 0x36a6, v99
	v_fma_f16 v156, v105, s18, v155
	v_mul_f16_e32 v99, 0xbbad, v99
	v_mul_f16_e32 v117, 0x36a6, v100
	v_mul_f16_e32 v119, 0xb93d, v100
	v_add_f16_e32 v151, v156, v151
	v_fma_f16 v156, v78, s24, v99
	v_mul_f16_e32 v100, 0x3abb, v100
	v_mul_f16_e32 v121, 0xb08e, v102
	v_mul_f16_e32 v123, 0xbbad, v102
	v_add_f16_e32 v156, v27, v156
	;; [unrolled: 5-line block ×4, first 2 shown]
	v_fma_f16 v157, v104, s29, v110
	v_mul_f16_e32 v111, 0xb08e, v111
	v_add_f16_e32 v156, v157, v156
	v_fma_f16 v157, v107, s27, v111
	v_mul_f16_e32 v93, 0xb482, v93
	v_add_f16_e32 v156, v157, v156
	v_fma_f16 v157, v72, s21, v93
	v_mul_f16_e32 v95, 0x3853, v95
	v_fma_f16 v93, v72, s21, -v93
	v_fma_f16 v158, v74, s16, v95
	v_mul_f16_e32 v96, 0xba0c, v96
	v_add_f16_e32 v93, v15, v93
	v_fma_f16 v95, v74, s16, -v95
	v_mul_f16_e32 v108, 0x3b47, v108
	v_add_f16_e32 v93, v95, v93
	v_fma_f16 v95, v76, s19, -v96
	;; [unrolled: 3-line block ×3, first 2 shown]
	v_add_f16_e32 v93, v95, v93
	v_fma_f16 v95, v105, s20, -v109
	v_add_f16_e32 v157, v15, v157
	v_add_f16_e32 v93, v95, v93
	v_fma_f16 v95, v78, s23, v144
	v_add_f16_e32 v157, v158, v157
	v_fma_f16 v158, v76, s19, v96
	v_fma_f16 v99, v78, s26, v99
	v_add_f16_e32 v95, v27, v95
	v_fma_f16 v96, v80, s27, v146
	v_add_f16_e32 v99, v27, v99
	;; [unrolled: 2-line block ×3, first 2 shown]
	v_fma_f16 v96, v88, s22, v147
	s_movk_i32 s31, 0x3b47
	v_add_f16_e32 v99, v100, v99
	v_fma_f16 v100, v88, s23, v102
	v_add_f16_e32 v95, v96, v95
	v_fma_f16 v96, v104, s26, v148
	;; [unrolled: 2-line block ×4, first 2 shown]
	v_mul_f16_e32 v112, 0x3abb, v72
	v_mul_f16_e32 v114, 0x36a6, v72
	v_add_f16_e32 v99, v100, v99
	v_fma_f16 v100, v107, s25, v111
	v_add_f16_e32 v95, v96, v95
	v_fma_f16 v96, v72, s19, -v150
	v_fma_f16 v72, v72, s20, -v138
	v_mul_f16_e32 v116, 0x36a6, v74
	v_mul_f16_e32 v118, 0xb93d, v74
	v_add_f16_e32 v99, v100, v99
	v_fma_f16 v100, v74, s20, -v152
	v_add_f16_e32 v72, v15, v72
	v_fma_f16 v74, v74, s21, -v140
	;; [unrolled: 2-line block ×5, first 2 shown]
	v_add_f16_e32 v96, v15, v96
	v_add_f16_e32 v72, v74, v72
	;; [unrolled: 1-line block ×3, first 2 shown]
	v_mul_f16_e32 v120, 0xb08e, v76
	v_mul_f16_e32 v122, 0xbbad, v76
	v_add_f16_e32 v96, v100, v96
	v_fma_f16 v100, v76, s16, -v153
	v_add_f16_e32 v74, v27, v74
	v_add_f16_e32 v76, v86, v119
	v_fma_f16 v78, v78, s25, v132
	v_add_f16_e32 v74, v76, v74
	v_add_f16_e32 v76, v92, v123
	v_add_f16_e32 v78, v27, v78
	v_fma_f16 v80, v80, s24, v134
	v_add_f16_e32 v74, v76, v74
	;; [unrolled: 4-line block ×4, first 2 shown]
	v_sub_f16_e32 v76, v114, v83
	v_sub_f16_e32 v73, v112, v73
	v_add_f16_e32 v16, v27, v16
	v_add_f16_e32 v78, v80, v78
	v_fma_f16 v80, v107, s23, v137
	v_add_f16_e32 v76, v15, v76
	v_add_f16_e32 v73, v15, v73
	;; [unrolled: 1-line block ×5, first 2 shown]
	v_sub_f16_e32 v80, v118, v84
	v_add_f16_e32 v15, v15, v28
	v_add_f16_e32 v16, v16, v18
	v_mul_f16_e32 v126, 0xb08e, v97
	v_add_f16_e32 v76, v80, v76
	v_sub_f16_e32 v80, v122, v89
	v_add_f16_e32 v15, v15, v30
	v_add_f16_e32 v16, v16, v19
	v_mul_f16_e32 v130, 0x3abb, v105
	v_add_f16_e32 v76, v80, v76
	v_sub_f16_e32 v80, v126, v94
	v_add_f16_e32 v15, v15, v29
	v_add_f16_e32 v16, v16, v20
	v_add_f16_e32 v76, v80, v76
	v_sub_f16_e32 v80, v130, v103
	v_add_f16_e32 v79, v79, v113
	v_add_f16_e32 v15, v15, v67
	;; [unrolled: 1-line block ×6, first 2 shown]
	v_sub_f16_e32 v75, v116, v75
	v_add_f16_e32 v15, v15, v61
	v_add_f16_e32 v16, v16, v22
	v_mul_f16_e32 v124, 0xb93d, v97
	v_add_f16_e32 v79, v80, v79
	v_add_f16_e32 v80, v82, v121
	;; [unrolled: 1-line block ×3, first 2 shown]
	v_sub_f16_e32 v75, v120, v77
	v_add_f16_e32 v15, v15, v68
	v_add_f16_e32 v16, v16, v23
	v_mul_f16_e32 v128, 0xbbad, v105
	v_add_f16_e32 v79, v80, v79
	v_add_f16_e32 v80, v90, v125
	;; [unrolled: 1-line block ×3, first 2 shown]
	v_sub_f16_e32 v75, v124, v87
	v_add_f16_e32 v15, v15, v69
	v_add_f16_e32 v16, v16, v24
	;; [unrolled: 1-line block ×5, first 2 shown]
	v_sub_f16_e32 v75, v128, v91
	v_add_f16_e32 v15, v15, v70
	v_add_f16_e32 v8, v16, v8
	v_mul_u32_u24_e32 v16, 0xb0, v56
	v_add_f16_e32 v96, v100, v96
	v_fma_f16 v100, v97, s21, -v154
	v_add_f16_e32 v79, v80, v79
	v_add_f16_e32 v73, v75, v73
	;; [unrolled: 1-line block ×3, first 2 shown]
	v_or_b32_e32 v16, v16, v43
	v_add_f16_e32 v157, v158, v157
	v_fma_f16 v158, v97, s18, v108
	v_add_f16_e32 v96, v100, v96
	v_fma_f16 v100, v105, s18, -v155
	v_lshlrev_b32_e32 v16, 2, v16
	v_pack_b32_f16 v8, v15, v8
	v_pack_b32_f16 v15, v73, v79
	v_add_f16_e32 v157, v158, v157
	v_fma_f16 v158, v105, s20, v109
	v_add_f16_e32 v96, v100, v96
	ds_write2_b32 v16, v8, v15 offset1:16
	v_pack_b32_f16 v8, v76, v74
	v_pack_b32_f16 v15, v72, v78
	v_add_f16_e32 v157, v158, v157
	ds_write2_b32 v16, v8, v15 offset0:32 offset1:48
	v_pack_b32_f16 v8, v96, v95
	v_pack_b32_f16 v15, v93, v99
	ds_write2_b32 v16, v8, v15 offset0:64 offset1:80
	v_pack_b32_f16 v8, v157, v156
	v_pack_b32_f16 v15, v151, v145
	s_mov_b32 s16, 0x5040100
	ds_write2_b32 v16, v8, v15 offset0:96 offset1:112
	v_pack_b32_f16 v8, v139, v133
	v_perm_b32 v15, v65, v63, s16
	ds_write2_b32 v16, v8, v15 offset0:128 offset1:144
	v_perm_b32 v8, v64, v62, s16
	ds_write_b32 v16, v8 offset:640
.LBB0_19:
	s_or_b64 exec, exec, s[6:7]
	s_mov_b32 s6, 0xba2f
	v_mul_u32_u24_sdwa v15, v25, s6 dst_sel:DWORD dst_unused:UNUSED_PAD src0_sel:WORD_0 src1_sel:DWORD
	v_lshrrev_b32_e32 v15, 23, v15
	v_lshlrev_b32_e32 v27, 2, v9
	v_mul_lo_u16_e32 v15, 0xb0, v15
	s_waitcnt lgkmcnt(0)
	s_barrier
	global_load_dwordx2 v[8:9], v27, s[14:15] offset:688
	v_sub_u16_e32 v28, v25, v15
	v_lshlrev_b16_e32 v15, 3, v28
	v_mov_b32_e32 v16, s15
	v_add_co_u32_e64 v15, s[6:7], s14, v15
	v_addc_co_u32_e64 v16, s[6:7], 0, v16, s[6:7]
	global_load_dwordx2 v[15:16], v[15:16], off offset:688
	v_add_u32_e32 v29, 0x500, v33
	ds_read2_b32 v[17:18], v33 offset1:176
	v_add_u32_e32 v30, 0x1000, v33
	v_add_u32_e32 v68, 0xa00, v33
	ds_read_b32 v61, v33 offset:5632
	ds_read2_b32 v[19:20], v29 offset0:32 offset1:208
	ds_read2_b32 v[21:22], v30 offset0:32 offset1:208
	ds_read2_b32 v[23:24], v68 offset0:64 offset1:240
	s_waitcnt lgkmcnt(4)
	v_lshrrev_b32_e32 v67, 16, v18
	s_movk_i32 s6, 0x3aee
	s_waitcnt lgkmcnt(2)
	v_lshrrev_b32_e32 v70, 16, v20
	s_waitcnt lgkmcnt(1)
	v_lshrrev_b32_e32 v71, 16, v21
	;; [unrolled: 2-line block ×3, first 2 shown]
	v_lshrrev_b32_e32 v73, 16, v22
	s_mov_b32 s7, 0xbaee
	v_lshrrev_b32_e32 v66, 16, v17
	v_lshrrev_b32_e32 v69, 16, v61
	;; [unrolled: 1-line block ×4, first 2 shown]
	s_waitcnt vmcnt(0)
	s_barrier
	v_mul_f16_sdwa v76, v70, v8 dst_sel:DWORD dst_unused:UNUSED_PAD src0_sel:DWORD src1_sel:WORD_1
	v_mul_f16_sdwa v78, v71, v9 dst_sel:DWORD dst_unused:UNUSED_PAD src0_sel:DWORD src1_sel:WORD_1
	;; [unrolled: 1-line block ×8, first 2 shown]
	v_fma_f16 v20, v20, v8, -v76
	v_fma_f16 v21, v21, v9, -v78
	v_fma_f16 v72, v72, v8, v81
	v_fma_f16 v73, v73, v9, v83
	;; [unrolled: 1-line block ×4, first 2 shown]
	v_fma_f16 v23, v23, v8, -v80
	v_fma_f16 v22, v22, v9, -v82
	v_add_f16_e32 v77, v20, v21
	v_sub_f16_e32 v82, v72, v73
	v_add_f16_e32 v83, v67, v72
	v_add_f16_e32 v72, v72, v73
	v_add_f16_e32 v76, v17, v20
	v_sub_f16_e32 v78, v70, v71
	v_add_f16_e32 v80, v18, v23
	v_add_f16_e32 v81, v23, v22
	v_sub_f16_e32 v23, v23, v22
	v_fma_f16 v17, v77, -0.5, v17
	v_fma_f16 v67, v72, -0.5, v67
	v_add_f16_e32 v79, v66, v70
	v_sub_f16_e32 v20, v20, v21
	v_add_f16_e32 v21, v76, v21
	v_fma_f16 v72, v78, s6, v17
	v_fma_f16 v17, v78, s7, v17
	;; [unrolled: 1-line block ×4, first 2 shown]
	v_mul_f16_sdwa v67, v75, v15 dst_sel:DWORD dst_unused:UNUSED_PAD src0_sel:DWORD src1_sel:WORD_1
	v_mul_f16_sdwa v78, v69, v16 dst_sel:DWORD dst_unused:UNUSED_PAD src0_sel:DWORD src1_sel:WORD_1
	v_add_f16_e32 v70, v70, v71
	v_add_f16_e32 v71, v79, v71
	v_mul_f16_sdwa v77, v24, v15 dst_sel:DWORD dst_unused:UNUSED_PAD src0_sel:DWORD src1_sel:WORD_1
	v_mul_f16_sdwa v79, v61, v16 dst_sel:DWORD dst_unused:UNUSED_PAD src0_sel:DWORD src1_sel:WORD_1
	v_fma_f16 v24, v24, v15, -v67
	v_fma_f16 v61, v61, v16, -v78
	v_fma_f16 v67, v75, v15, v77
	v_fma_f16 v69, v69, v16, v79
	v_add_f16_e32 v77, v24, v61
	v_fma_f16 v66, v70, -0.5, v66
	v_add_f16_e32 v75, v19, v24
	v_fma_f16 v19, v77, -0.5, v19
	v_sub_f16_e32 v77, v67, v69
	v_add_f16_e32 v22, v80, v22
	v_fma_f16 v18, v81, -0.5, v18
	v_add_f16_e32 v70, v83, v73
	v_fma_f16 v73, v20, s7, v66
	v_fma_f16 v20, v20, s6, v66
	;; [unrolled: 1-line block ×4, first 2 shown]
	v_add_f16_e32 v77, v74, v67
	v_add_f16_e32 v67, v67, v69
	v_fma_f16 v66, v82, s6, v18
	v_fma_f16 v18, v82, s7, v18
	v_add_f16_e32 v75, v75, v61
	v_fma_f16 v67, v67, -0.5, v74
	v_sub_f16_e32 v24, v24, v61
	v_pack_b32_f16 v21, v21, v71
	v_pack_b32_f16 v61, v72, v73
	;; [unrolled: 1-line block ×4, first 2 shown]
	v_add_f16_e32 v77, v77, v69
	v_fma_f16 v69, v24, s7, v67
	ds_write2_b32 v33, v21, v61 offset1:176
	ds_write2_b32 v29, v17, v20 offset0:32 offset1:208
	v_pack_b32_f16 v17, v66, v76
	v_pack_b32_f16 v18, v18, v23
	v_lshlrev_b32_e32 v61, 2, v28
	v_fma_f16 v24, v24, s6, v67
	ds_write2_b32 v68, v17, v18 offset0:64 offset1:240
	v_pack_b32_f16 v17, v75, v77
	v_pack_b32_f16 v18, v78, v69
	v_add_u32_e32 v20, 0x1000, v61
	ds_write2_b32 v20, v17, v18 offset0:32 offset1:208
	v_pack_b32_f16 v17, v19, v24
	ds_write_b32 v61, v17 offset:5632
	s_waitcnt lgkmcnt(0)
	s_barrier
	global_load_dwordx2 v[17:18], v27, s[14:15] offset:2096
	v_lshlrev_b32_e32 v19, 2, v26
	v_lshlrev_b32_e32 v21, 3, v25
	global_load_dwordx2 v[21:22], v21, s[14:15] offset:2096
	v_mov_b32_e32 v23, s17
	global_load_dwordx2 v[19:20], v19, s[14:15] offset:2096
	v_addc_co_u32_e64 v69, s[2:3], 0, v23, s[2:3]
	ds_read2_b32 v[23:24], v33 offset1:176
	ds_read2_b32 v[25:26], v29 offset0:32 offset1:208
	ds_read2_b32 v[27:28], v30 offset0:32 offset1:208
	;; [unrolled: 1-line block ×3, first 2 shown]
	ds_read_b32 v66, v33 offset:5632
	s_waitcnt lgkmcnt(4)
	v_lshrrev_b32_e32 v67, 16, v23
	s_waitcnt lgkmcnt(3)
	v_lshrrev_b32_e32 v70, 16, v26
	;; [unrolled: 2-line block ×5, first 2 shown]
	v_lshrrev_b32_e32 v74, 16, v28
	v_lshrrev_b32_e32 v72, 16, v24
	;; [unrolled: 1-line block ×4, first 2 shown]
	s_movk_i32 s14, 0x1000
	s_waitcnt vmcnt(2)
	v_mul_f16_sdwa v78, v70, v17 dst_sel:DWORD dst_unused:UNUSED_PAD src0_sel:DWORD src1_sel:WORD_1
	v_mul_f16_sdwa v80, v71, v18 dst_sel:DWORD dst_unused:UNUSED_PAD src0_sel:DWORD src1_sel:WORD_1
	;; [unrolled: 1-line block ×4, first 2 shown]
	s_waitcnt vmcnt(1)
	v_mul_f16_sdwa v88, v77, v22 dst_sel:DWORD dst_unused:UNUSED_PAD src0_sel:DWORD src1_sel:WORD_1
	v_fma_f16 v26, v26, v17, -v78
	v_fma_f16 v27, v27, v18, -v80
	v_mul_f16_sdwa v89, v66, v22 dst_sel:DWORD dst_unused:UNUSED_PAD src0_sel:DWORD src1_sel:WORD_1
	v_fma_f16 v70, v70, v17, v79
	v_fma_f16 v71, v71, v18, v81
	v_fma_f16 v78, v66, v22, -v88
	v_add_f16_e32 v66, v23, v26
	v_add_f16_e32 v79, v26, v27
	v_sub_f16_e32 v80, v70, v71
	v_add_f16_e32 v81, v66, v27
	v_fma_f16 v23, v79, -0.5, v23
	v_add_f16_e32 v66, v67, v70
	s_waitcnt vmcnt(0)
	v_mul_f16_sdwa v82, v73, v19 dst_sel:DWORD dst_unused:UNUSED_PAD src0_sel:DWORD src1_sel:WORD_1
	v_fma_f16 v79, v80, s6, v23
	v_fma_f16 v23, v80, s7, v23
	v_add_f16_e32 v80, v66, v71
	v_add_f16_e32 v66, v70, v71
	v_mul_f16_sdwa v83, v29, v19 dst_sel:DWORD dst_unused:UNUSED_PAD src0_sel:DWORD src1_sel:WORD_1
	v_mul_f16_sdwa v84, v74, v20 dst_sel:DWORD dst_unused:UNUSED_PAD src0_sel:DWORD src1_sel:WORD_1
	v_fma_f16 v29, v29, v19, -v82
	v_fma_f16 v66, v66, -0.5, v67
	v_sub_f16_e32 v26, v26, v27
	v_mul_f16_sdwa v85, v28, v20 dst_sel:DWORD dst_unused:UNUSED_PAD src0_sel:DWORD src1_sel:WORD_1
	v_fma_f16 v28, v28, v20, -v84
	v_fma_f16 v27, v26, s7, v66
	v_fma_f16 v26, v26, s6, v66
	v_add_f16_e32 v66, v24, v29
	v_fma_f16 v73, v73, v19, v83
	v_fma_f16 v74, v74, v20, v85
	v_add_f16_e32 v70, v66, v28
	v_add_f16_e32 v66, v29, v28
	v_fma_f16 v24, v66, -0.5, v24
	v_sub_f16_e32 v66, v73, v74
	v_fma_f16 v71, v66, s6, v24
	v_fma_f16 v24, v66, s7, v24
	v_add_f16_e32 v66, v72, v73
	v_mul_f16_sdwa v86, v76, v21 dst_sel:DWORD dst_unused:UNUSED_PAD src0_sel:DWORD src1_sel:WORD_1
	v_add_f16_e32 v82, v66, v74
	v_add_f16_e32 v66, v73, v74
	v_mul_f16_sdwa v87, v30, v21 dst_sel:DWORD dst_unused:UNUSED_PAD src0_sel:DWORD src1_sel:WORD_1
	v_fma_f16 v30, v30, v21, -v86
	v_fma_f16 v66, v66, -0.5, v72
	v_sub_f16_e32 v28, v29, v28
	v_fma_f16 v29, v28, s7, v66
	v_fma_f16 v28, v28, s6, v66
	v_add_f16_e32 v66, v25, v30
	v_fma_f16 v76, v76, v21, v87
	v_fma_f16 v77, v77, v22, v89
	v_add_f16_e32 v72, v66, v78
	v_add_f16_e32 v66, v30, v78
	v_fma_f16 v25, v66, -0.5, v25
	v_sub_f16_e32 v66, v76, v77
	v_add_f16_e32 v67, v76, v77
	v_fma_f16 v73, v66, s6, v25
	v_fma_f16 v66, v66, s7, v25
	v_add_f16_e32 v25, v75, v76
	v_fma_f16 v67, v67, -0.5, v75
	v_sub_f16_e32 v30, v30, v78
	v_pack_b32_f16 v23, v23, v26
	v_add_f16_e32 v25, v25, v77
	v_fma_f16 v74, v30, s7, v67
	v_fma_f16 v67, v30, s6, v67
	v_pack_b32_f16 v30, v81, v80
	v_pack_b32_f16 v27, v79, v27
	ds_write_b32 v33, v23 offset:4224
	v_pack_b32_f16 v23, v70, v82
	v_pack_b32_f16 v24, v24, v28
	ds_write_b32 v33, v27 offset:2112
	ds_write2_b32 v33, v30, v23 offset1:176
	ds_write_b32 v33, v24 offset:4928
	v_pack_b32_f16 v24, v72, v25
	v_pack_b32_f16 v23, v71, v29
	ds_write_b32 v33, v24 offset:1408
	v_pack_b32_f16 v24, v73, v74
	ds_write2_b32 v68, v23, v24 offset0:64 offset1:240
	v_pack_b32_f16 v23, v66, v67
	ds_write_b32 v33, v23 offset:5632
	v_add_co_u32_e64 v23, s[2:3], s14, v10
	v_addc_co_u32_e64 v24, s[2:3], 0, v69, s[2:3]
	s_waitcnt lgkmcnt(0)
	s_barrier
	global_load_dword v29, v[23:24], off offset:2240
	s_movk_i32 s2, 0x18c0
	v_add_co_u32_e64 v23, s[2:3], s2, v10
	v_addc_co_u32_e64 v24, s[2:3], 0, v69, s[2:3]
	global_load_dword v70, v[23:24], off offset:1584
	global_load_dword v72, v[23:24], off offset:3168
	s_movk_i32 s2, 0x2000
	v_add_co_u32_e64 v25, s[2:3], s2, v10
	v_addc_co_u32_e64 v26, s[2:3], 0, v69, s[2:3]
	global_load_dword v73, v[25:26], off offset:2896
	global_load_dword v74, v[25:26], off offset:3600
	;; [unrolled: 1-line block ×5, first 2 shown]
	ds_read2_b32 v[27:28], v33 offset1:176
	v_add_u32_e32 v25, 0x600, v33
	s_waitcnt lgkmcnt(0)
	v_lshrrev_b32_e32 v26, 16, v27
	s_waitcnt vmcnt(7)
	v_mul_f16_sdwa v30, v26, v29 dst_sel:DWORD dst_unused:UNUSED_PAD src0_sel:DWORD src1_sel:WORD_1
	v_mul_f16_sdwa v68, v27, v29 dst_sel:DWORD dst_unused:UNUSED_PAD src0_sel:DWORD src1_sel:WORD_1
	v_fma_f16 v27, v27, v29, -v30
	v_fma_f16 v26, v26, v29, v68
	v_pack_b32_f16 v26, v27, v26
	ds_write_b32 v33, v26
	ds_read2_b32 v[29:30], v25 offset0:12 offset1:188
	v_add_u32_e32 v27, 0xc00, v33
	ds_read2_b32 v[68:69], v27 offset0:24 offset1:200
	s_waitcnt lgkmcnt(1)
	v_lshrrev_b32_e32 v26, 16, v29
	s_waitcnt vmcnt(6)
	v_mul_f16_sdwa v71, v29, v70 dst_sel:DWORD dst_unused:UNUSED_PAD src0_sel:DWORD src1_sel:WORD_1
	v_mul_f16_sdwa v78, v26, v70 dst_sel:DWORD dst_unused:UNUSED_PAD src0_sel:DWORD src1_sel:WORD_1
	v_fma_f16 v26, v26, v70, v71
	v_fma_f16 v29, v29, v70, -v78
	v_pack_b32_f16 v26, v29, v26
	v_add_u32_e32 v29, 0x1200, v33
	ds_read2_b32 v[70:71], v29 offset0:36 offset1:212
	s_waitcnt lgkmcnt(1)
	v_lshrrev_b32_e32 v78, 16, v68
	s_waitcnt vmcnt(5)
	v_mul_f16_sdwa v79, v78, v72 dst_sel:DWORD dst_unused:UNUSED_PAD src0_sel:DWORD src1_sel:WORD_1
	v_fma_f16 v79, v68, v72, -v79
	v_mul_f16_sdwa v68, v68, v72 dst_sel:DWORD dst_unused:UNUSED_PAD src0_sel:DWORD src1_sel:WORD_1
	v_fma_f16 v68, v78, v72, v68
	s_waitcnt lgkmcnt(0)
	v_lshrrev_b32_e32 v72, 16, v70
	s_waitcnt vmcnt(4)
	v_mul_f16_sdwa v78, v72, v73 dst_sel:DWORD dst_unused:UNUSED_PAD src0_sel:DWORD src1_sel:WORD_1
	v_fma_f16 v78, v70, v73, -v78
	v_mul_f16_sdwa v70, v70, v73 dst_sel:DWORD dst_unused:UNUSED_PAD src0_sel:DWORD src1_sel:WORD_1
	v_fma_f16 v70, v72, v73, v70
	v_lshrrev_b32_e32 v72, 16, v28
	s_waitcnt vmcnt(0)
	v_mul_f16_sdwa v73, v72, v77 dst_sel:DWORD dst_unused:UNUSED_PAD src0_sel:DWORD src1_sel:WORD_1
	v_fma_f16 v73, v28, v77, -v73
	v_mul_f16_sdwa v28, v28, v77 dst_sel:DWORD dst_unused:UNUSED_PAD src0_sel:DWORD src1_sel:WORD_1
	v_fma_f16 v28, v72, v77, v28
	v_pack_b32_f16 v28, v73, v28
	v_add_u32_e32 v72, 0x280, v33
	ds_write2_b32 v72, v28, v26 offset0:16 offset1:236
	v_lshrrev_b32_e32 v26, 16, v30
	v_mul_f16_sdwa v28, v26, v76 dst_sel:DWORD dst_unused:UNUSED_PAD src0_sel:DWORD src1_sel:WORD_1
	v_fma_f16 v28, v30, v76, -v28
	v_mul_f16_sdwa v30, v30, v76 dst_sel:DWORD dst_unused:UNUSED_PAD src0_sel:DWORD src1_sel:WORD_1
	v_fma_f16 v26, v26, v76, v30
	v_pack_b32_f16 v68, v79, v68
	v_pack_b32_f16 v26, v28, v26
	v_add_u32_e32 v28, 0x880, v33
	ds_write2_b32 v28, v26, v68 offset0:28 offset1:248
	v_lshrrev_b32_e32 v26, 16, v69
	v_mul_f16_sdwa v28, v26, v75 dst_sel:DWORD dst_unused:UNUSED_PAD src0_sel:DWORD src1_sel:WORD_1
	v_mul_f16_sdwa v30, v69, v75 dst_sel:DWORD dst_unused:UNUSED_PAD src0_sel:DWORD src1_sel:WORD_1
	v_fma_f16 v28, v69, v75, -v28
	v_fma_f16 v26, v26, v75, v30
	v_pack_b32_f16 v70, v78, v70
	v_pack_b32_f16 v26, v28, v26
	v_add_u32_e32 v28, 0xf00, v33
	ds_write2_b32 v28, v26, v70 offset0:8 offset1:228
	v_lshrrev_b32_e32 v26, 16, v71
	v_mul_f16_sdwa v28, v26, v74 dst_sel:DWORD dst_unused:UNUSED_PAD src0_sel:DWORD src1_sel:WORD_1
	v_mul_f16_sdwa v30, v71, v74 dst_sel:DWORD dst_unused:UNUSED_PAD src0_sel:DWORD src1_sel:WORD_1
	v_fma_f16 v28, v71, v74, -v28
	v_fma_f16 v26, v26, v74, v30
	v_pack_b32_f16 v26, v28, v26
	ds_write_b32 v33, v26 offset:5456
	s_and_saveexec_b64 s[6:7], s[0:1]
	s_cbranch_execz .LBB0_21
; %bb.20:
	global_load_dword v26, v[23:24], off offset:1408
	global_load_dword v28, v[23:24], off offset:2992
	v_add_co_u32_e64 v23, s[2:3], s14, v23
	v_addc_co_u32_e64 v24, s[2:3], 0, v24, s[2:3]
	global_load_dword v30, v[23:24], off offset:480
	global_load_dword v68, v[23:24], off offset:2064
	ds_read_b32 v23, v33 offset:1408
	ds_read_b32 v24, v33 offset:2992
	;; [unrolled: 1-line block ×4, first 2 shown]
	s_waitcnt lgkmcnt(3)
	v_lshrrev_b32_e32 v71, 16, v23
	s_waitcnt lgkmcnt(2)
	v_lshrrev_b32_e32 v72, 16, v24
	;; [unrolled: 2-line block ×4, first 2 shown]
	s_waitcnt vmcnt(3)
	v_mul_f16_sdwa v75, v71, v26 dst_sel:DWORD dst_unused:UNUSED_PAD src0_sel:DWORD src1_sel:WORD_1
	v_mul_f16_sdwa v76, v23, v26 dst_sel:DWORD dst_unused:UNUSED_PAD src0_sel:DWORD src1_sel:WORD_1
	s_waitcnt vmcnt(2)
	v_mul_f16_sdwa v77, v72, v28 dst_sel:DWORD dst_unused:UNUSED_PAD src0_sel:DWORD src1_sel:WORD_1
	v_mul_f16_sdwa v78, v24, v28 dst_sel:DWORD dst_unused:UNUSED_PAD src0_sel:DWORD src1_sel:WORD_1
	v_fma_f16 v23, v23, v26, -v75
	v_fma_f16 v26, v71, v26, v76
	v_fma_f16 v24, v24, v28, -v77
	v_fma_f16 v28, v72, v28, v78
	s_waitcnt vmcnt(1)
	v_mul_f16_sdwa v71, v73, v30 dst_sel:DWORD dst_unused:UNUSED_PAD src0_sel:DWORD src1_sel:WORD_1
	v_mul_f16_sdwa v72, v69, v30 dst_sel:DWORD dst_unused:UNUSED_PAD src0_sel:DWORD src1_sel:WORD_1
	s_waitcnt vmcnt(0)
	v_mul_f16_sdwa v75, v74, v68 dst_sel:DWORD dst_unused:UNUSED_PAD src0_sel:DWORD src1_sel:WORD_1
	v_mul_f16_sdwa v76, v70, v68 dst_sel:DWORD dst_unused:UNUSED_PAD src0_sel:DWORD src1_sel:WORD_1
	v_pack_b32_f16 v23, v23, v26
	v_pack_b32_f16 v24, v24, v28
	v_fma_f16 v26, v69, v30, -v71
	v_fma_f16 v28, v73, v30, v72
	v_fma_f16 v30, v70, v68, -v75
	v_fma_f16 v68, v74, v68, v76
	ds_write_b32 v33, v23 offset:1408
	ds_write_b32 v33, v24 offset:2992
	v_pack_b32_f16 v23, v26, v28
	v_pack_b32_f16 v24, v30, v68
	ds_write_b32 v33, v23 offset:4576
	ds_write_b32 v33, v24 offset:6160
.LBB0_21:
	s_or_b64 exec, exec, s[6:7]
	s_waitcnt lgkmcnt(0)
	s_barrier
	ds_read2_b32 v[23:24], v33 offset1:176
	ds_read2_b32 v[25:26], v25 offset0:12 offset1:188
	ds_read2_b32 v[27:28], v27 offset0:24 offset1:200
	;; [unrolled: 1-line block ×3, first 2 shown]
	s_and_saveexec_b64 s[2:3], s[0:1]
	s_cbranch_execz .LBB0_23
; %bb.22:
	ds_read_b32 v66, v33 offset:1408
	ds_read_b32 v63, v33 offset:2992
	;; [unrolled: 1-line block ×4, first 2 shown]
	s_waitcnt lgkmcnt(3)
	v_lshrrev_b32_e32 v67, 16, v66
	s_waitcnt lgkmcnt(2)
	v_lshrrev_b32_e32 v65, 16, v63
	;; [unrolled: 2-line block ×4, first 2 shown]
.LBB0_23:
	s_or_b64 exec, exec, s[2:3]
	s_waitcnt lgkmcnt(1)
	v_pk_add_f16 v68, v23, v27 neg_lo:[0,1] neg_hi:[0,1]
	s_waitcnt lgkmcnt(0)
	v_pk_add_f16 v29, v25, v29 neg_lo:[0,1] neg_hi:[0,1]
	v_lshrrev_b32_e32 v27, 16, v68
	v_sub_f16_e32 v70, v27, v29
	v_pk_add_f16 v73, v24, v28 neg_lo:[0,1] neg_hi:[0,1]
	v_fma_f16 v72, v27, 2.0, -v70
	v_pk_add_f16 v30, v26, v30 neg_lo:[0,1] neg_hi:[0,1]
	v_lshrrev_b32_e32 v27, 16, v73
	v_sub_f16_e32 v75, v27, v30
	v_sub_f16_e32 v78, v66, v62
	;; [unrolled: 1-line block ×4, first 2 shown]
	v_add_f16_sdwa v69, v68, v29 dst_sel:DWORD dst_unused:UNUSED_PAD src0_sel:DWORD src1_sel:WORD_1
	v_fma_f16 v77, v27, 2.0, -v75
	v_fma_f16 v27, v66, 2.0, -v78
	v_sub_f16_e32 v66, v65, v49
	v_fma_f16 v48, v63, 2.0, -v64
	v_pk_fma_f16 v23, v23, 2.0, v68 op_sel_hi:[1,0,1] neg_lo:[0,0,1] neg_hi:[0,0,1]
	v_pk_fma_f16 v25, v25, 2.0, v29 op_sel_hi:[1,0,1] neg_lo:[0,0,1] neg_hi:[0,0,1]
	v_fma_f16 v71, v68, 2.0, -v69
	v_fma_f16 v28, v67, 2.0, -v79
	v_fma_f16 v49, v65, 2.0, -v66
	v_sub_f16_e32 v48, v27, v48
	v_pk_add_f16 v68, v23, v25 neg_lo:[0,1] neg_hi:[0,1]
	v_add_f16_sdwa v74, v73, v30 dst_sel:DWORD dst_unused:UNUSED_PAD src0_sel:DWORD src1_sel:WORD_1
	v_sub_f16_e32 v49, v28, v49
	v_fma_f16 v62, v27, 2.0, -v48
	v_add_f16_e32 v27, v66, v78
	v_pk_fma_f16 v66, v23, 2.0, v68 op_sel_hi:[1,0,1] neg_lo:[0,0,1] neg_hi:[0,0,1]
	v_pk_fma_f16 v23, v24, 2.0, v73 op_sel_hi:[1,0,1] neg_lo:[0,0,1] neg_hi:[0,0,1]
	;; [unrolled: 1-line block ×3, first 2 shown]
	v_fma_f16 v76, v73, 2.0, -v74
	v_fma_f16 v63, v28, 2.0, -v49
	v_sub_f16_e32 v28, v79, v64
	v_pk_add_f16 v25, v23, v24 neg_lo:[0,1] neg_hi:[0,1]
	v_fma_f16 v64, v78, 2.0, -v27
	v_fma_f16 v65, v79, 2.0, -v28
	v_pack_b32_f16 v69, v69, v70
	v_pack_b32_f16 v67, v71, v72
	v_pk_fma_f16 v23, v23, 2.0, v25 op_sel_hi:[1,0,1] neg_lo:[0,0,1] neg_hi:[0,0,1]
	v_pack_b32_f16 v26, v74, v75
	v_pack_b32_f16 v24, v76, v77
	s_barrier
	ds_write_b128 v47, v[66:69]
	ds_write_b128 v46, v[23:26]
	s_and_saveexec_b64 s[2:3], s[0:1]
	s_cbranch_execz .LBB0_25
; %bb.24:
	s_mov_b32 s6, 0x5040100
	v_perm_b32 v26, v28, v27, s6
	v_perm_b32 v25, v49, v48, s6
	;; [unrolled: 1-line block ×4, first 2 shown]
	ds_write_b128 v45, v[23:26]
.LBB0_25:
	s_or_b64 exec, exec, s[2:3]
	v_add_u32_e32 v23, 0xc00, v33
	s_waitcnt lgkmcnt(0)
	s_barrier
	ds_read2_b32 v[29:30], v23 offset0:24 offset1:200
	v_add_u32_e32 v23, 0x500, v33
	v_add_u32_e32 v27, 0x1100, v33
	ds_read2_b32 v[25:26], v33 offset1:176
	ds_read2_b32 v[23:24], v23 offset0:32 offset1:208
	ds_read2_b32 v[27:28], v27 offset0:56 offset1:232
	s_and_saveexec_b64 s[2:3], vcc
	s_cbranch_execz .LBB0_27
; %bb.26:
	ds_read_b32 v62, v33 offset:2816
	ds_read_b32 v64, v33 offset:5984
	s_waitcnt lgkmcnt(1)
	v_lshrrev_b32_e32 v63, 16, v62
	s_waitcnt lgkmcnt(0)
	v_lshrrev_b32_e32 v65, 16, v64
.LBB0_27:
	s_or_b64 exec, exec, s[2:3]
	s_waitcnt lgkmcnt(3)
	v_lshrrev_b32_e32 v46, 16, v29
	v_mul_f16_sdwa v71, v32, v46 dst_sel:DWORD dst_unused:UNUSED_PAD src0_sel:WORD_1 src1_sel:DWORD
	v_lshrrev_b32_e32 v66, 16, v30
	v_fma_f16 v71, v32, v29, v71
	v_mul_f16_sdwa v29, v32, v29 dst_sel:DWORD dst_unused:UNUSED_PAD src0_sel:WORD_1 src1_sel:DWORD
	v_fma_f16 v29, v32, v46, -v29
	v_mul_f16_sdwa v46, v32, v66 dst_sel:DWORD dst_unused:UNUSED_PAD src0_sel:WORD_1 src1_sel:DWORD
	s_waitcnt lgkmcnt(0)
	v_lshrrev_b32_e32 v68, 16, v27
	v_fma_f16 v46, v32, v30, v46
	v_mul_f16_sdwa v30, v32, v30 dst_sel:DWORD dst_unused:UNUSED_PAD src0_sel:WORD_1 src1_sel:DWORD
	v_fma_f16 v30, v32, v66, -v30
	v_mul_f16_sdwa v66, v32, v68 dst_sel:DWORD dst_unused:UNUSED_PAD src0_sel:WORD_1 src1_sel:DWORD
	v_lshrrev_b32_e32 v70, 16, v28
	v_fma_f16 v66, v32, v27, v66
	v_mul_f16_sdwa v27, v32, v27 dst_sel:DWORD dst_unused:UNUSED_PAD src0_sel:WORD_1 src1_sel:DWORD
	v_fma_f16 v27, v32, v68, -v27
	v_mul_f16_sdwa v68, v32, v70 dst_sel:DWORD dst_unused:UNUSED_PAD src0_sel:WORD_1 src1_sel:DWORD
	v_fma_f16 v68, v32, v28, v68
	v_mul_f16_sdwa v28, v32, v28 dst_sel:DWORD dst_unused:UNUSED_PAD src0_sel:WORD_1 src1_sel:DWORD
	v_fma_f16 v28, v32, v70, -v28
	v_mul_f16_sdwa v70, v32, v65 dst_sel:DWORD dst_unused:UNUSED_PAD src0_sel:WORD_1 src1_sel:DWORD
	v_lshrrev_b32_e32 v45, 16, v25
	v_fma_f16 v70, v32, v64, v70
	v_mul_f16_sdwa v64, v32, v64 dst_sel:DWORD dst_unused:UNUSED_PAD src0_sel:WORD_1 src1_sel:DWORD
	v_lshrrev_b32_e32 v47, 16, v26
	v_fma_f16 v32, v32, v65, -v64
	v_sub_f16_e32 v65, v25, v71
	v_sub_f16_e32 v71, v45, v29
	v_lshrrev_b32_e32 v67, 16, v23
	v_fma_f16 v25, v25, 2.0, -v65
	v_fma_f16 v45, v45, 2.0, -v71
	v_sub_f16_e32 v46, v26, v46
	v_sub_f16_e32 v30, v47, v30
	v_lshrrev_b32_e32 v69, 16, v24
	v_fma_f16 v26, v26, 2.0, -v46
	v_fma_f16 v47, v47, 2.0, -v30
	v_sub_f16_e32 v66, v23, v66
	v_sub_f16_e32 v27, v67, v27
	v_pack_b32_f16 v25, v25, v45
	v_pack_b32_f16 v45, v65, v71
	v_fma_f16 v23, v23, 2.0, -v66
	v_fma_f16 v67, v67, 2.0, -v27
	v_sub_f16_e32 v68, v24, v68
	v_sub_f16_e32 v28, v69, v28
	s_barrier
	ds_write2_b32 v52, v25, v45 offset1:4
	v_pack_b32_f16 v25, v26, v47
	v_pack_b32_f16 v26, v46, v30
	v_fma_f16 v24, v24, 2.0, -v68
	v_fma_f16 v69, v69, 2.0, -v28
	v_sub_f16_e32 v29, v62, v70
	v_sub_f16_e32 v32, v63, v32
	ds_write2_b32 v51, v25, v26 offset1:4
	v_pack_b32_f16 v23, v23, v67
	v_pack_b32_f16 v25, v66, v27
	v_fma_f16 v62, v62, 2.0, -v29
	v_fma_f16 v64, v63, 2.0, -v32
	ds_write2_b32 v50, v23, v25 offset1:4
	v_pack_b32_f16 v23, v24, v69
	v_pack_b32_f16 v24, v68, v28
	ds_write2_b32 v54, v23, v24 offset1:4
	s_and_saveexec_b64 s[2:3], vcc
	s_cbranch_execz .LBB0_29
; %bb.28:
	s_movk_i32 s6, 0x7f8
	v_and_or_b32 v23, v44, s6, v31
	s_mov_b32 s6, 0x5040100
	v_lshlrev_b32_e32 v23, 2, v23
	v_perm_b32 v24, v64, v62, s6
	v_perm_b32 v25, v32, v29, s6
	ds_write2_b32 v23, v24, v25 offset1:4
.LBB0_29:
	s_or_b64 exec, exec, s[2:3]
	v_add_u32_e32 v23, 0xc00, v33
	s_waitcnt lgkmcnt(0)
	s_barrier
	ds_read2_b32 v[27:28], v23 offset0:24 offset1:200
	v_add_u32_e32 v23, 0x500, v33
	ds_read2_b32 v[30:31], v23 offset0:32 offset1:208
	v_add_u32_e32 v23, 0x1100, v33
	ds_read2_b32 v[25:26], v33 offset1:176
	ds_read2_b32 v[23:24], v23 offset0:56 offset1:232
	s_and_saveexec_b64 s[2:3], vcc
	s_cbranch_execz .LBB0_31
; %bb.30:
	ds_read_b32 v62, v33 offset:2816
	ds_read_b32 v29, v33 offset:5984
	s_waitcnt lgkmcnt(1)
	v_lshrrev_b32_e32 v64, 16, v62
	s_waitcnt lgkmcnt(0)
	v_lshrrev_b32_e32 v32, 16, v29
.LBB0_31:
	s_or_b64 exec, exec, s[2:3]
	s_waitcnt lgkmcnt(3)
	v_lshrrev_b32_e32 v46, 16, v27
	v_mul_f16_sdwa v65, v55, v46 dst_sel:DWORD dst_unused:UNUSED_PAD src0_sel:WORD_1 src1_sel:DWORD
	v_lshrrev_b32_e32 v50, 16, v28
	v_fma_f16 v65, v55, v27, v65
	v_mul_f16_sdwa v27, v55, v27 dst_sel:DWORD dst_unused:UNUSED_PAD src0_sel:WORD_1 src1_sel:DWORD
	v_fma_f16 v27, v55, v46, -v27
	v_mul_f16_sdwa v46, v55, v50 dst_sel:DWORD dst_unused:UNUSED_PAD src0_sel:WORD_1 src1_sel:DWORD
	s_waitcnt lgkmcnt(0)
	v_lshrrev_b32_e32 v52, 16, v23
	v_fma_f16 v46, v55, v28, v46
	v_mul_f16_sdwa v28, v55, v28 dst_sel:DWORD dst_unused:UNUSED_PAD src0_sel:WORD_1 src1_sel:DWORD
	v_fma_f16 v50, v55, v50, -v28
	v_mul_f16_sdwa v28, v55, v52 dst_sel:DWORD dst_unused:UNUSED_PAD src0_sel:WORD_1 src1_sel:DWORD
	v_lshrrev_b32_e32 v54, 16, v24
	v_fma_f16 v66, v55, v23, v28
	v_mul_f16_sdwa v23, v55, v23 dst_sel:DWORD dst_unused:UNUSED_PAD src0_sel:WORD_1 src1_sel:DWORD
	v_fma_f16 v67, v55, v52, -v23
	v_mul_f16_sdwa v23, v55, v54 dst_sel:DWORD dst_unused:UNUSED_PAD src0_sel:WORD_1 src1_sel:DWORD
	v_fma_f16 v68, v55, v24, v23
	v_mul_f16_sdwa v23, v55, v24 dst_sel:DWORD dst_unused:UNUSED_PAD src0_sel:WORD_1 src1_sel:DWORD
	v_fma_f16 v54, v55, v54, -v23
	v_mul_f16_sdwa v23, v55, v32 dst_sel:DWORD dst_unused:UNUSED_PAD src0_sel:WORD_1 src1_sel:DWORD
	v_lshrrev_b32_e32 v45, 16, v25
	v_lshrrev_b32_e32 v47, 16, v26
	;; [unrolled: 1-line block ×4, first 2 shown]
	v_fma_f16 v69, v55, v29, v23
	v_mul_f16_sdwa v23, v55, v29 dst_sel:DWORD dst_unused:UNUSED_PAD src0_sel:WORD_1 src1_sel:DWORD
	v_sub_f16_e32 v28, v26, v46
	v_fma_f16 v70, v55, v32, -v23
	v_sub_f16_e32 v24, v25, v65
	v_sub_f16_e32 v55, v45, v27
	;; [unrolled: 1-line block ×3, first 2 shown]
	v_fma_f16 v27, v26, 2.0, -v28
	v_sub_f16_e32 v26, v30, v66
	v_sub_f16_e32 v46, v51, v67
	;; [unrolled: 1-line block ×3, first 2 shown]
	v_fma_f16 v23, v25, 2.0, -v24
	v_fma_f16 v45, v45, 2.0, -v55
	;; [unrolled: 1-line block ×5, first 2 shown]
	v_sub_f16_e32 v30, v31, v68
	v_fma_f16 v51, v63, 2.0, -v54
	v_sub_f16_e32 v32, v62, v69
	v_sub_f16_e32 v63, v64, v70
	v_fma_f16 v29, v31, 2.0, -v30
	v_fma_f16 v31, v62, 2.0, -v32
	;; [unrolled: 1-line block ×3, first 2 shown]
	v_pack_b32_f16 v64, v23, v45
	v_pack_b32_f16 v65, v24, v55
	s_barrier
	ds_write2_b32 v57, v64, v65 offset1:8
	v_pack_b32_f16 v57, v27, v52
	v_pack_b32_f16 v64, v28, v50
	ds_write2_b32 v58, v57, v64 offset1:8
	v_pack_b32_f16 v57, v25, v47
	v_pack_b32_f16 v58, v26, v46
	;; [unrolled: 3-line block ×3, first 2 shown]
	ds_write2_b32 v60, v57, v58 offset1:8
	s_and_saveexec_b64 s[2:3], vcc
	s_cbranch_execz .LBB0_33
; %bb.32:
	s_movk_i32 s6, 0x7f0
	v_and_or_b32 v44, v44, s6, v53
	s_mov_b32 s6, 0x5040100
	v_lshlrev_b32_e32 v44, 2, v44
	v_perm_b32 v53, v62, v31, s6
	v_perm_b32 v57, v63, v32, s6
	ds_write2_b32 v44, v53, v57 offset1:8
.LBB0_33:
	s_or_b64 exec, exec, s[2:3]
	s_waitcnt lgkmcnt(0)
	s_barrier
	s_and_saveexec_b64 s[2:3], s[4:5]
	s_cbranch_execz .LBB0_35
; %bb.34:
	v_add_u32_e32 v25, 0x400, v33
	ds_read2_b32 v[27:28], v25 offset0:32 offset1:176
	v_add_u32_e32 v25, 0x800, v33
	v_add_u32_e32 v29, 0xc00, v33
	;; [unrolled: 1-line block ×3, first 2 shown]
	ds_read2_b32 v[23:24], v33 offset1:144
	ds_read2_b32 v[25:26], v25 offset0:64 offset1:208
	ds_read2_b32 v[29:30], v29 offset0:96 offset1:240
	ds_read2_b32 v[31:32], v31 offset1:144
	ds_read_b32 v48, v33 offset:5760
	s_waitcnt lgkmcnt(4)
	v_lshrrev_b32_e32 v45, 16, v23
	v_lshrrev_b32_e32 v55, 16, v24
	;; [unrolled: 1-line block ×4, first 2 shown]
	s_waitcnt lgkmcnt(3)
	v_lshrrev_b32_e32 v47, 16, v25
	v_lshrrev_b32_e32 v46, 16, v26
	s_waitcnt lgkmcnt(2)
	v_lshrrev_b32_e32 v51, 16, v29
	v_lshrrev_b32_e32 v54, 16, v30
	;; [unrolled: 3-line block ×3, first 2 shown]
	s_waitcnt lgkmcnt(0)
	v_lshrrev_b32_e32 v49, 16, v48
.LBB0_35:
	s_or_b64 exec, exec, s[2:3]
	s_barrier
	s_and_saveexec_b64 s[2:3], s[4:5]
	s_cbranch_execz .LBB0_37
; %bb.36:
	v_mul_f16_sdwa v44, v0, v55 dst_sel:DWORD dst_unused:UNUSED_PAD src0_sel:WORD_1 src1_sel:DWORD
	v_mul_f16_sdwa v53, v14, v49 dst_sel:DWORD dst_unused:UNUSED_PAD src0_sel:WORD_1 src1_sel:DWORD
	v_fma_f16 v44, v0, v24, v44
	v_fma_f16 v53, v14, v48, v53
	v_mul_f16_sdwa v48, v14, v48 dst_sel:DWORD dst_unused:UNUSED_PAD src0_sel:WORD_1 src1_sel:DWORD
	v_mul_f16_sdwa v24, v0, v24 dst_sel:DWORD dst_unused:UNUSED_PAD src0_sel:WORD_1 src1_sel:DWORD
	v_fma_f16 v14, v14, v49, -v48
	v_fma_f16 v0, v0, v55, -v24
	v_mul_f16_sdwa v49, v1, v52 dst_sel:DWORD dst_unused:UNUSED_PAD src0_sel:WORD_1 src1_sel:DWORD
	v_mul_f16_sdwa v55, v13, v63 dst_sel:DWORD dst_unused:UNUSED_PAD src0_sel:WORD_1 src1_sel:DWORD
	v_sub_f16_e32 v57, v44, v53
	v_fma_f16 v49, v1, v27, v49
	v_fma_f16 v55, v13, v32, v55
	v_mul_f16_sdwa v32, v13, v32 dst_sel:DWORD dst_unused:UNUSED_PAD src0_sel:WORD_1 src1_sel:DWORD
	v_mul_f16_sdwa v27, v1, v27 dst_sel:DWORD dst_unused:UNUSED_PAD src0_sel:WORD_1 src1_sel:DWORD
	v_mul_f16_e32 v58, 0xb853, v57
	v_add_f16_e32 v24, v14, v0
	s_movk_i32 s4, 0x3abb
	v_sub_f16_e32 v59, v49, v55
	v_fma_f16 v13, v13, v63, -v32
	v_fma_f16 v1, v1, v52, -v27
	v_fma_f16 v48, v24, s4, v58
	v_mul_f16_e32 v60, 0xbb47, v59
	v_add_f16_e32 v27, v13, v1
	s_movk_i32 s5, 0x36a6
	v_add_f16_e32 v48, v45, v48
	v_fma_f16 v32, v27, s5, v60
	v_add_f16_e32 v32, v32, v48
	v_mul_f16_sdwa v48, v2, v50 dst_sel:DWORD dst_unused:UNUSED_PAD src0_sel:WORD_1 src1_sel:DWORD
	v_mul_f16_sdwa v52, v7, v62 dst_sel:DWORD dst_unused:UNUSED_PAD src0_sel:WORD_1 src1_sel:DWORD
	v_fma_f16 v48, v2, v28, v48
	v_fma_f16 v52, v7, v31, v52
	v_mul_f16_sdwa v31, v7, v31 dst_sel:DWORD dst_unused:UNUSED_PAD src0_sel:WORD_1 src1_sel:DWORD
	v_mul_f16_sdwa v28, v2, v28 dst_sel:DWORD dst_unused:UNUSED_PAD src0_sel:WORD_1 src1_sel:DWORD
	v_sub_f16_e32 v63, v48, v52
	v_fma_f16 v7, v7, v62, -v31
	v_fma_f16 v2, v2, v50, -v28
	v_mul_f16_e32 v64, 0xbbeb, v63
	v_add_f16_e32 v28, v7, v2
	s_mov_b32 s6, 0xb08e
	v_fma_f16 v31, v28, s6, v64
	v_add_f16_e32 v31, v31, v32
	v_mul_f16_sdwa v32, v3, v47 dst_sel:DWORD dst_unused:UNUSED_PAD src0_sel:WORD_1 src1_sel:DWORD
	v_mul_f16_sdwa v50, v6, v54 dst_sel:DWORD dst_unused:UNUSED_PAD src0_sel:WORD_1 src1_sel:DWORD
	v_fma_f16 v32, v3, v25, v32
	v_fma_f16 v50, v6, v30, v50
	v_mul_f16_sdwa v30, v6, v30 dst_sel:DWORD dst_unused:UNUSED_PAD src0_sel:WORD_1 src1_sel:DWORD
	v_mul_f16_sdwa v25, v3, v25 dst_sel:DWORD dst_unused:UNUSED_PAD src0_sel:WORD_1 src1_sel:DWORD
	v_sub_f16_e32 v62, v32, v50
	v_fma_f16 v6, v6, v54, -v30
	v_fma_f16 v3, v3, v47, -v25
	v_mul_f16_e32 v65, 0xba0c, v62
	v_add_f16_e32 v25, v6, v3
	s_mov_b32 s7, 0xb93d
	;; [unrolled: 14-line block ×3, first 2 shown]
	v_fma_f16 v29, v26, s14, v66
	v_sub_f16_e32 v46, v0, v14
	v_add_f16_e32 v29, v29, v30
	v_add_f16_e32 v30, v53, v44
	v_mul_f16_e32 v51, 0xb853, v46
	v_sub_f16_e32 v69, v1, v13
	v_fma_f16 v67, v30, s4, -v51
	v_add_f16_e32 v68, v55, v49
	v_mul_f16_e32 v70, 0xbb47, v69
	v_add_f16_e32 v67, v23, v67
	v_fma_f16 v71, v68, s5, -v70
	v_sub_f16_e32 v72, v2, v7
	v_add_f16_e32 v67, v71, v67
	v_add_f16_e32 v71, v52, v48
	v_mul_f16_e32 v73, 0xbbeb, v72
	v_fma_f16 v74, v71, s6, -v73
	v_sub_f16_e32 v75, v3, v6
	v_add_f16_e32 v67, v74, v67
	v_add_f16_e32 v74, v50, v32
	v_mul_f16_e32 v76, 0xba0c, v75
	;; [unrolled: 5-line block ×3, first 2 shown]
	v_fma_f16 v80, v77, s14, -v79
	v_add_f16_e32 v67, v80, v67
	v_mul_f16_e32 v80, 0xbb47, v57
	v_fma_f16 v81, v24, s5, v80
	v_mul_f16_e32 v82, 0xba0c, v59
	v_add_f16_e32 v81, v45, v81
	v_fma_f16 v83, v27, s7, v82
	v_add_f16_e32 v81, v83, v81
	v_mul_f16_e32 v83, 0x3482, v63
	v_fma_f16 v84, v28, s14, v83
	v_add_f16_e32 v81, v84, v81
	v_mul_f16_e32 v84, 0x3beb, v62
	v_fma_f16 v85, v25, s6, v84
	v_add_f16_e32 v81, v85, v81
	v_mul_f16_e32 v85, 0x3853, v54
	v_fma_f16 v86, v26, s4, v85
	v_add_f16_e32 v81, v86, v81
	v_mul_f16_e32 v86, 0xbb47, v46
	v_fma_f16 v87, v30, s5, -v86
	v_mul_f16_e32 v88, 0xba0c, v69
	v_add_f16_e32 v87, v23, v87
	v_fma_f16 v89, v68, s7, -v88
	v_add_f16_e32 v87, v89, v87
	v_mul_f16_e32 v89, 0x3482, v72
	v_fma_f16 v90, v71, s14, -v89
	v_add_f16_e32 v87, v90, v87
	v_mul_f16_e32 v90, 0x3beb, v75
	v_fma_f16 v91, v74, s6, -v90
	v_add_f16_e32 v87, v91, v87
	v_mul_f16_e32 v91, 0x3853, v78
	v_fma_f16 v92, v77, s4, -v91
	v_add_f16_e32 v87, v92, v87
	v_mul_f16_e32 v92, 0xbbeb, v57
	v_fma_f16 v93, v24, s6, v92
	v_mul_f16_e32 v94, 0x3482, v59
	v_add_f16_e32 v93, v45, v93
	v_fma_f16 v95, v27, s14, v94
	v_add_f16_e32 v93, v95, v93
	v_mul_f16_e32 v95, 0x3b47, v63
	v_fma_f16 v96, v28, s5, v95
	v_add_f16_e32 v93, v96, v93
	v_mul_f16_e32 v96, 0xb853, v62
	v_fma_f16 v97, v25, s4, v96
	v_add_f16_e32 v93, v97, v93
	v_mul_f16_e32 v97, 0xba0c, v54
	v_fma_f16 v98, v26, s7, v97
	v_add_f16_e32 v93, v98, v93
	v_mul_f16_e32 v98, 0xbbeb, v46
	v_fma_f16 v99, v30, s6, -v98
	v_mul_f16_e32 v100, 0x3482, v69
	v_add_f16_e32 v99, v23, v99
	v_fma_f16 v101, v68, s14, -v100
	v_add_f16_e32 v99, v101, v99
	v_mul_f16_e32 v101, 0x3b47, v72
	v_fma_f16 v102, v71, s5, -v101
	v_add_f16_e32 v99, v102, v99
	v_mul_f16_e32 v102, 0xb853, v75
	v_fma_f16 v103, v74, s4, -v102
	v_add_f16_e32 v99, v103, v99
	v_mul_f16_e32 v103, 0xba0c, v78
	;; [unrolled: 30-line block ×3, first 2 shown]
	v_fma_f16 v116, v77, s5, -v115
	v_mul_f16_e32 v57, 0xb482, v57
	v_add_f16_e32 v111, v116, v111
	v_fma_f16 v116, v24, s14, v57
	v_mul_f16_e32 v59, 0x3853, v59
	v_add_f16_e32 v116, v45, v116
	v_fma_f16 v117, v27, s4, v59
	v_mul_f16_e32 v63, 0xba0c, v63
	v_fma_f16 v57, v24, s14, -v57
	v_add_f16_e32 v116, v117, v116
	v_fma_f16 v117, v28, s7, v63
	v_mul_f16_e32 v62, 0x3b47, v62
	v_add_f16_e32 v57, v45, v57
	v_fma_f16 v59, v27, s4, -v59
	v_add_f16_e32 v116, v117, v116
	v_fma_f16 v117, v25, s5, v62
	v_mul_f16_e32 v54, 0xbbeb, v54
	v_add_f16_e32 v57, v59, v57
	;; [unrolled: 5-line block ×3, first 2 shown]
	v_fma_f16 v59, v25, s5, -v62
	v_add_f16_e32 v116, v117, v116
	v_fma_f16 v117, v30, s14, -v46
	v_mul_f16_e32 v69, 0x3853, v69
	v_add_f16_e32 v57, v59, v57
	v_fma_f16 v54, v26, s6, -v54
	v_fma_f16 v46, v30, s14, v46
	v_mul_f16_e32 v72, 0xba0c, v72
	v_add_f16_e32 v54, v54, v57
	v_add_f16_e32 v46, v23, v46
	v_fma_f16 v57, v68, s4, v69
	v_mul_f16_e32 v75, 0x3b47, v75
	v_add_f16_e32 v46, v57, v46
	v_fma_f16 v57, v71, s7, v72
	v_mul_f16_e32 v78, 0xbbeb, v78
	v_add_f16_e32 v46, v57, v46
	v_fma_f16 v57, v74, s5, v75
	v_add_f16_e32 v46, v57, v46
	v_fma_f16 v57, v77, s6, v78
	v_add_f16_e32 v46, v57, v46
	v_fma_f16 v57, v24, s7, -v104
	v_add_f16_e32 v57, v45, v57
	v_fma_f16 v59, v27, s6, -v106
	;; [unrolled: 2-line block ×5, first 2 shown]
	v_add_f16_e32 v57, v59, v57
	v_fma_f16 v59, v30, s7, v110
	v_add_f16_e32 v59, v23, v59
	v_fma_f16 v62, v68, s6, v112
	;; [unrolled: 2-line block ×5, first 2 shown]
	v_add_f16_e32 v59, v62, v59
	v_fma_f16 v62, v24, s6, -v92
	v_add_f16_e32 v62, v45, v62
	v_fma_f16 v63, v27, s14, -v94
	;; [unrolled: 2-line block ×5, first 2 shown]
	v_add_f16_e32 v62, v63, v62
	v_fma_f16 v63, v30, s6, v98
	v_fma_f16 v118, v68, s4, -v69
	v_add_f16_e32 v63, v23, v63
	v_fma_f16 v69, v68, s14, v100
	v_add_f16_e32 v63, v69, v63
	v_fma_f16 v69, v71, s5, v101
	;; [unrolled: 2-line block ×4, first 2 shown]
	v_add_f16_e32 v117, v23, v117
	v_add_f16_e32 v63, v69, v63
	v_fma_f16 v69, v24, s5, -v80
	v_fma_f16 v24, v24, s4, -v58
	v_add_f16_e32 v117, v118, v117
	v_fma_f16 v118, v71, s7, -v72
	v_add_f16_e32 v69, v45, v69
	;; [unrolled: 2-line block ×10, first 2 shown]
	v_fma_f16 v72, v30, s5, v86
	v_add_f16_e32 v24, v25, v24
	v_fma_f16 v25, v30, s4, v51
	v_add_f16_e32 v72, v23, v72
	v_add_f16_e32 v25, v23, v25
	v_add_f16_e32 v23, v23, v44
	v_add_f16_e32 v0, v0, v45
	v_add_f16_e32 v23, v49, v23
	v_add_f16_e32 v0, v1, v0
	v_add_f16_e32 v23, v48, v23
	v_add_f16_e32 v0, v2, v0
	v_add_f16_e32 v23, v32, v23
	v_add_f16_e32 v0, v3, v0
	v_add_f16_e32 v23, v31, v23
	v_add_f16_e32 v0, v4, v0
	v_fma_f16 v26, v68, s5, v70
	v_add_f16_e32 v23, v47, v23
	v_add_f16_e32 v0, v5, v0
	;; [unrolled: 1-line block ×3, first 2 shown]
	v_fma_f16 v118, v74, s5, -v75
	v_fma_f16 v75, v68, s7, v88
	v_add_f16_e32 v25, v26, v25
	v_fma_f16 v26, v71, s6, v73
	v_add_f16_e32 v23, v50, v23
	v_add_f16_e32 v0, v6, v0
	;; [unrolled: 1-line block ×3, first 2 shown]
	v_fma_f16 v75, v71, s14, v89
	v_add_f16_e32 v25, v26, v25
	v_fma_f16 v26, v74, s7, v76
	v_add_f16_e32 v23, v52, v23
	v_add_f16_e32 v0, v7, v0
	;; [unrolled: 1-line block ×3, first 2 shown]
	v_fma_f16 v75, v74, s6, v90
	v_add_f16_e32 v25, v26, v25
	v_fma_f16 v26, v77, s14, v79
	v_add_f16_e32 v23, v55, v23
	v_add_f16_e32 v0, v13, v0
	v_mul_u32_u24_e32 v1, 0xb0, v56
	v_add_f16_e32 v72, v75, v72
	v_fma_f16 v75, v77, s4, v91
	v_add_f16_e32 v25, v26, v25
	v_add_f16_e32 v23, v53, v23
	;; [unrolled: 1-line block ×3, first 2 shown]
	v_or_b32_e32 v1, v1, v43
	v_add_f16_e32 v72, v75, v72
	v_lshlrev_b32_e32 v1, 2, v1
	v_pack_b32_f16 v0, v23, v0
	v_pack_b32_f16 v2, v25, v24
	v_add_f16_e32 v117, v118, v117
	v_fma_f16 v118, v77, s6, -v78
	ds_write2_b32 v1, v0, v2 offset1:16
	v_pack_b32_f16 v0, v72, v69
	v_pack_b32_f16 v2, v63, v62
	v_add_f16_e32 v117, v118, v117
	ds_write2_b32 v1, v0, v2 offset0:32 offset1:48
	v_pack_b32_f16 v0, v59, v57
	v_pack_b32_f16 v2, v46, v54
	ds_write2_b32 v1, v0, v2 offset0:64 offset1:80
	v_pack_b32_f16 v0, v117, v116
	v_pack_b32_f16 v2, v111, v105
	ds_write2_b32 v1, v0, v2 offset0:96 offset1:112
	v_pack_b32_f16 v0, v99, v93
	v_pack_b32_f16 v2, v87, v81
	ds_write2_b32 v1, v0, v2 offset0:128 offset1:144
	v_pack_b32_f16 v0, v67, v29
	ds_write_b32 v1, v0 offset:640
.LBB0_37:
	s_or_b64 exec, exec, s[2:3]
	v_add_u32_e32 v13, 0x500, v33
	s_waitcnt lgkmcnt(0)
	s_barrier
	ds_read2_b32 v[2:3], v13 offset0:32 offset1:208
	v_add_u32_e32 v14, 0x1000, v33
	ds_read2_b32 v[4:5], v14 offset0:32 offset1:208
	v_add_u32_e32 v24, 0xa00, v33
	ds_read2_b32 v[6:7], v24 offset0:64 offset1:240
	s_waitcnt lgkmcnt(2)
	v_lshrrev_b32_e32 v25, 16, v3
	v_mul_f16_sdwa v44, v8, v25 dst_sel:DWORD dst_unused:UNUSED_PAD src0_sel:WORD_1 src1_sel:DWORD
	s_waitcnt lgkmcnt(1)
	v_lshrrev_b32_e32 v26, 16, v4
	v_fma_f16 v44, v8, v3, v44
	v_mul_f16_sdwa v3, v8, v3 dst_sel:DWORD dst_unused:UNUSED_PAD src0_sel:WORD_1 src1_sel:DWORD
	v_fma_f16 v3, v8, v25, -v3
	v_mul_f16_sdwa v25, v9, v26 dst_sel:DWORD dst_unused:UNUSED_PAD src0_sel:WORD_1 src1_sel:DWORD
	s_waitcnt lgkmcnt(0)
	v_lshrrev_b32_e32 v29, 16, v6
	v_fma_f16 v25, v9, v4, v25
	v_mul_f16_sdwa v4, v9, v4 dst_sel:DWORD dst_unused:UNUSED_PAD src0_sel:WORD_1 src1_sel:DWORD
	ds_read_b32 v28, v33 offset:5632
	v_fma_f16 v4, v9, v26, -v4
	v_mul_f16_sdwa v26, v8, v29 dst_sel:DWORD dst_unused:UNUSED_PAD src0_sel:WORD_1 src1_sel:DWORD
	v_lshrrev_b32_e32 v30, 16, v5
	v_fma_f16 v26, v8, v6, v26
	v_mul_f16_sdwa v6, v8, v6 dst_sel:DWORD dst_unused:UNUSED_PAD src0_sel:WORD_1 src1_sel:DWORD
	v_fma_f16 v6, v8, v29, -v6
	v_mul_f16_sdwa v8, v9, v30 dst_sel:DWORD dst_unused:UNUSED_PAD src0_sel:WORD_1 src1_sel:DWORD
	ds_read2_b32 v[0:1], v33 offset1:176
	v_lshrrev_b32_e32 v32, 16, v7
	v_fma_f16 v8, v9, v5, v8
	v_mul_f16_sdwa v5, v9, v5 dst_sel:DWORD dst_unused:UNUSED_PAD src0_sel:WORD_1 src1_sel:DWORD
	v_fma_f16 v5, v9, v30, -v5
	v_mul_f16_sdwa v9, v15, v32 dst_sel:DWORD dst_unused:UNUSED_PAD src0_sel:WORD_1 src1_sel:DWORD
	s_waitcnt lgkmcnt(1)
	v_lshrrev_b32_e32 v43, 16, v28
	v_fma_f16 v9, v15, v7, v9
	v_mul_f16_sdwa v7, v15, v7 dst_sel:DWORD dst_unused:UNUSED_PAD src0_sel:WORD_1 src1_sel:DWORD
	v_fma_f16 v7, v15, v32, -v7
	v_mul_f16_sdwa v15, v16, v43 dst_sel:DWORD dst_unused:UNUSED_PAD src0_sel:WORD_1 src1_sel:DWORD
	v_fma_f16 v15, v16, v28, v15
	v_mul_f16_sdwa v28, v16, v28 dst_sel:DWORD dst_unused:UNUSED_PAD src0_sel:WORD_1 src1_sel:DWORD
	v_add_f16_e32 v29, v44, v25
	s_waitcnt lgkmcnt(0)
	v_lshrrev_b32_e32 v23, 16, v0
	v_fma_f16 v16, v16, v43, -v28
	v_add_f16_e32 v28, v0, v44
	v_fma_f16 v0, v29, -0.5, v0
	v_sub_f16_e32 v29, v3, v4
	s_mov_b32 s2, 0xbaee
	s_movk_i32 s3, 0x3aee
	v_fma_f16 v30, v29, s2, v0
	v_fma_f16 v0, v29, s3, v0
	v_add_f16_e32 v29, v23, v3
	v_add_f16_e32 v3, v3, v4
	v_add_f16_e32 v28, v28, v25
	v_add_f16_e32 v29, v29, v4
	v_fma_f16 v3, v3, -0.5, v23
	v_sub_f16_e32 v4, v44, v25
	v_add_f16_e32 v25, v26, v8
	v_lshrrev_b32_e32 v27, 16, v1
	v_fma_f16 v23, v4, s3, v3
	v_fma_f16 v3, v4, s2, v3
	v_add_f16_e32 v4, v1, v26
	v_fma_f16 v1, v25, -0.5, v1
	v_sub_f16_e32 v25, v6, v5
	v_fma_f16 v32, v25, s2, v1
	v_fma_f16 v1, v25, s3, v1
	v_add_f16_e32 v25, v27, v6
	v_add_f16_e32 v25, v25, v5
	;; [unrolled: 1-line block ×3, first 2 shown]
	v_fma_f16 v5, v5, -0.5, v27
	v_sub_f16_e32 v6, v26, v8
	v_add_f16_e32 v26, v9, v15
	v_lshrrev_b32_e32 v31, 16, v2
	v_add_f16_e32 v4, v4, v8
	v_fma_f16 v8, v6, s3, v5
	v_fma_f16 v5, v6, s2, v5
	v_add_f16_e32 v6, v2, v9
	v_fma_f16 v2, v26, -0.5, v2
	v_sub_f16_e32 v26, v7, v16
	v_fma_f16 v27, v26, s2, v2
	v_fma_f16 v2, v26, s3, v2
	v_add_f16_e32 v26, v31, v7
	v_add_f16_e32 v7, v7, v16
	v_fma_f16 v7, v7, -0.5, v31
	v_sub_f16_e32 v9, v9, v15
	v_add_f16_e32 v6, v6, v15
	v_add_f16_e32 v26, v26, v16
	v_fma_f16 v15, v9, s3, v7
	v_fma_f16 v7, v9, s2, v7
	v_pack_b32_f16 v9, v28, v29
	v_pack_b32_f16 v16, v30, v23
	;; [unrolled: 1-line block ×4, first 2 shown]
	s_barrier
	ds_write2_b32 v33, v9, v16 offset1:176
	ds_write2_b32 v13, v0, v3 offset0:32 offset1:208
	v_pack_b32_f16 v0, v32, v8
	v_pack_b32_f16 v1, v1, v5
	ds_write2_b32 v24, v0, v1 offset0:64 offset1:240
	v_pack_b32_f16 v0, v6, v26
	v_pack_b32_f16 v1, v27, v15
	v_add_u32_e32 v3, 0x1000, v61
	ds_write2_b32 v3, v0, v1 offset0:32 offset1:208
	v_pack_b32_f16 v0, v2, v7
	ds_write_b32 v61, v0 offset:5632
	s_waitcnt lgkmcnt(0)
	s_barrier
	ds_read2_b32 v[0:1], v33 offset1:176
	ds_read2_b32 v[2:3], v13 offset0:32 offset1:208
	ds_read2_b32 v[4:5], v14 offset0:32 offset1:208
	;; [unrolled: 1-line block ×3, first 2 shown]
	ds_read_b32 v15, v33 offset:5632
	s_waitcnt lgkmcnt(4)
	v_lshrrev_b32_e32 v8, 16, v0
	s_waitcnt lgkmcnt(3)
	v_lshrrev_b32_e32 v9, 16, v3
	v_mul_f16_sdwa v28, v17, v9 dst_sel:DWORD dst_unused:UNUSED_PAD src0_sel:WORD_1 src1_sel:DWORD
	s_waitcnt lgkmcnt(2)
	v_lshrrev_b32_e32 v13, 16, v4
	v_fma_f16 v28, v17, v3, v28
	v_mul_f16_sdwa v3, v17, v3 dst_sel:DWORD dst_unused:UNUSED_PAD src0_sel:WORD_1 src1_sel:DWORD
	v_fma_f16 v3, v17, v9, -v3
	v_mul_f16_sdwa v9, v18, v13 dst_sel:DWORD dst_unused:UNUSED_PAD src0_sel:WORD_1 src1_sel:DWORD
	s_waitcnt lgkmcnt(1)
	v_lshrrev_b32_e32 v16, 16, v6
	v_fma_f16 v9, v18, v4, v9
	v_mul_f16_sdwa v4, v18, v4 dst_sel:DWORD dst_unused:UNUSED_PAD src0_sel:WORD_1 src1_sel:DWORD
	v_fma_f16 v4, v18, v13, -v4
	v_mul_f16_sdwa v13, v19, v16 dst_sel:DWORD dst_unused:UNUSED_PAD src0_sel:WORD_1 src1_sel:DWORD
	v_lshrrev_b32_e32 v23, 16, v5
	v_fma_f16 v13, v19, v6, v13
	v_mul_f16_sdwa v6, v19, v6 dst_sel:DWORD dst_unused:UNUSED_PAD src0_sel:WORD_1 src1_sel:DWORD
	v_fma_f16 v6, v19, v16, -v6
	v_mul_f16_sdwa v16, v20, v23 dst_sel:DWORD dst_unused:UNUSED_PAD src0_sel:WORD_1 src1_sel:DWORD
	;; [unrolled: 5-line block ×3, first 2 shown]
	v_add_f16_e32 v20, v28, v9
	v_fma_f16 v17, v21, v7, v17
	v_mul_f16_sdwa v7, v21, v7 dst_sel:DWORD dst_unused:UNUSED_PAD src0_sel:WORD_1 src1_sel:DWORD
	v_add_f16_e32 v19, v0, v28
	v_fma_f16 v0, v20, -0.5, v0
	v_sub_f16_e32 v20, v3, v4
	s_waitcnt lgkmcnt(0)
	v_lshrrev_b32_e32 v27, 16, v15
	v_fma_f16 v7, v21, v26, -v7
	v_fma_f16 v21, v20, s2, v0
	v_fma_f16 v0, v20, s3, v0
	v_add_f16_e32 v20, v8, v3
	v_add_f16_e32 v3, v3, v4
	v_mul_f16_sdwa v18, v22, v27 dst_sel:DWORD dst_unused:UNUSED_PAD src0_sel:WORD_1 src1_sel:DWORD
	v_add_f16_e32 v19, v19, v9
	v_add_f16_e32 v20, v20, v4
	v_fma_f16 v3, v3, -0.5, v8
	v_sub_f16_e32 v4, v28, v9
	v_add_f16_e32 v9, v13, v16
	v_lshrrev_b32_e32 v14, 16, v1
	v_fma_f16 v18, v22, v15, v18
	v_mul_f16_sdwa v15, v22, v15 dst_sel:DWORD dst_unused:UNUSED_PAD src0_sel:WORD_1 src1_sel:DWORD
	v_fma_f16 v8, v4, s3, v3
	v_fma_f16 v3, v4, s2, v3
	v_add_f16_e32 v4, v1, v13
	v_fma_f16 v1, v9, -0.5, v1
	v_sub_f16_e32 v9, v6, v5
	v_fma_f16 v15, v22, v27, -v15
	v_fma_f16 v22, v9, s2, v1
	v_fma_f16 v1, v9, s3, v1
	v_add_f16_e32 v9, v14, v6
	v_add_f16_e32 v9, v9, v5
	;; [unrolled: 1-line block ×3, first 2 shown]
	v_fma_f16 v5, v5, -0.5, v14
	v_sub_f16_e32 v6, v13, v16
	v_add_f16_e32 v14, v17, v18
	v_lshrrev_b32_e32 v25, 16, v2
	v_fma_f16 v13, v6, s3, v5
	v_fma_f16 v5, v6, s2, v5
	v_add_f16_e32 v6, v2, v17
	v_fma_f16 v2, v14, -0.5, v2
	v_sub_f16_e32 v14, v7, v15
	v_add_f16_e32 v4, v4, v16
	v_fma_f16 v16, v14, s2, v2
	v_fma_f16 v2, v14, s3, v2
	v_add_f16_e32 v14, v25, v7
	v_add_f16_e32 v7, v7, v15
	;; [unrolled: 1-line block ×3, first 2 shown]
	v_fma_f16 v7, v7, -0.5, v25
	v_sub_f16_e32 v15, v17, v18
	v_pack_b32_f16 v0, v0, v3
	v_add_f16_e32 v6, v6, v18
	v_fma_f16 v17, v15, s3, v7
	v_fma_f16 v7, v15, s2, v7
	v_pack_b32_f16 v15, v19, v20
	v_pack_b32_f16 v8, v21, v8
	ds_write_b32 v33, v0 offset:4224
	v_pack_b32_f16 v0, v4, v9
	v_pack_b32_f16 v1, v1, v5
	ds_write_b32 v33, v8 offset:2112
	ds_write2_b32 v33, v15, v0 offset1:176
	ds_write_b32 v33, v1 offset:4928
	v_pack_b32_f16 v1, v6, v14
	v_pack_b32_f16 v0, v22, v13
	ds_write_b32 v33, v1 offset:1408
	v_pack_b32_f16 v1, v16, v17
	ds_write2_b32 v24, v0, v1 offset0:64 offset1:240
	v_pack_b32_f16 v0, v2, v7
	ds_write_b32 v33, v0 offset:5632
	s_waitcnt lgkmcnt(0)
	s_barrier
	ds_read2_b32 v[0:1], v33 offset1:176
	s_mov_b32 s6, 0xa052bf5b
	s_mov_b32 s7, 0x3f44afd6
	v_mad_u64_u32 v[4:5], s[2:3], s10, v12, 0
	s_waitcnt lgkmcnt(0)
	v_lshrrev_b32_e32 v7, 16, v0
	v_mul_f16_sdwa v2, v42, v7 dst_sel:DWORD dst_unused:UNUSED_PAD src0_sel:WORD_1 src1_sel:DWORD
	v_fma_f16 v2, v42, v0, v2
	v_cvt_f32_f16_e32 v2, v2
	s_movk_i32 s14, 0x1ff
	v_mad_u64_u32 v[5:6], s[2:3], s11, v12, v[5:6]
	v_cvt_f64_f32_e32 v[2:3], v2
	s_movk_i32 s15, 0xffe
	v_mul_f16_sdwa v0, v42, v0 dst_sel:DWORD dst_unused:UNUSED_PAD src0_sel:WORD_1 src1_sel:DWORD
	v_fma_f16 v0, v42, v7, -v0
	v_mul_f64 v[2:3], v[2:3], s[6:7]
	v_cvt_f32_f16_e32 v0, v0
	s_movk_i32 s16, 0x40f
	s_mov_b32 s17, 0x8000
	v_lshlrev_b64 v[4:5], 2, v[4:5]
	s_movk_i32 s18, 0x1000
	v_and_or_b32 v2, v3, s14, v2
	v_cmp_ne_u32_e32 vcc, 0, v2
	v_cndmask_b32_e64 v2, 0, 1, vcc
	v_lshrrev_b32_e32 v6, 8, v3
	v_bfe_u32 v8, v3, 20, 11
	v_and_or_b32 v2, v6, s15, v2
	v_sub_u32_e32 v9, 0x3f1, v8
	v_or_b32_e32 v6, 0x1000, v2
	v_med3_i32 v9, v9, 0, 13
	v_lshrrev_b32_e32 v12, v9, v6
	v_lshlrev_b32_e32 v9, v9, v12
	v_cmp_ne_u32_e32 vcc, v9, v6
	v_cndmask_b32_e64 v6, 0, 1, vcc
	v_add_u32_e32 v9, 0xfffffc10, v8
	v_or_b32_e32 v6, v12, v6
	v_lshl_or_b32 v8, v9, 12, v2
	v_cmp_gt_i32_e32 vcc, 1, v9
	v_cndmask_b32_e32 v6, v8, v6, vcc
	v_and_b32_e32 v8, 7, v6
	v_cmp_lt_i32_e32 vcc, 5, v8
	v_cmp_eq_u32_e64 s[2:3], 3, v8
	v_cvt_f64_f32_e32 v[7:8], v0
	v_lshrrev_b32_e32 v6, 2, v6
	s_or_b64 vcc, s[2:3], vcc
	v_addc_co_u32_e32 v12, vcc, 0, v6, vcc
	v_mul_f64 v[7:8], v[7:8], s[6:7]
	v_mov_b32_e32 v6, 0x7c00
	v_cmp_gt_i32_e32 vcc, 31, v9
	v_cndmask_b32_e32 v0, v6, v12, vcc
	v_cmp_ne_u32_e32 vcc, 0, v2
	v_cndmask_b32_e64 v2, 0, 1, vcc
	v_lshl_or_b32 v2, v2, 9, v6
	v_cmp_eq_u32_e32 vcc, s16, v9
	v_cndmask_b32_e32 v0, v0, v2, vcc
	v_lshrrev_b32_e32 v2, 16, v3
	v_and_or_b32 v9, v2, s17, v0
	v_and_or_b32 v0, v8, s14, v7
	v_cmp_ne_u32_e32 vcc, 0, v0
	v_cndmask_b32_e64 v0, 0, 1, vcc
	v_lshrrev_b32_e32 v2, 8, v8
	v_bfe_u32 v3, v8, 20, 11
	v_and_or_b32 v0, v2, s15, v0
	v_sub_u32_e32 v7, 0x3f1, v3
	v_or_b32_e32 v2, 0x1000, v0
	v_med3_i32 v7, v7, 0, 13
	v_lshrrev_b32_e32 v12, v7, v2
	v_lshlrev_b32_e32 v7, v7, v12
	v_cmp_ne_u32_e32 vcc, v7, v2
	v_cndmask_b32_e64 v2, 0, 1, vcc
	v_add_u32_e32 v3, 0xfffffc10, v3
	v_or_b32_e32 v2, v12, v2
	v_lshl_or_b32 v7, v3, 12, v0
	v_cmp_gt_i32_e32 vcc, 1, v3
	v_cndmask_b32_e32 v2, v7, v2, vcc
	v_and_b32_e32 v7, 7, v2
	v_cmp_lt_i32_e32 vcc, 5, v7
	v_cmp_eq_u32_e64 s[2:3], 3, v7
	v_lshrrev_b32_e32 v2, 2, v2
	s_or_b64 vcc, s[2:3], vcc
	v_addc_co_u32_e32 v2, vcc, 0, v2, vcc
	v_cmp_gt_i32_e32 vcc, 31, v3
	v_cndmask_b32_e32 v2, v6, v2, vcc
	v_cmp_ne_u32_e32 vcc, 0, v0
	v_cndmask_b32_e64 v0, 0, 1, vcc
	v_lshl_or_b32 v0, v0, 9, v6
	v_cmp_eq_u32_e32 vcc, s16, v3
	v_cndmask_b32_e32 v14, v2, v0, vcc
	v_add_u32_e32 v0, 0x600, v33
	v_mad_u64_u32 v[12:13], s[2:3], s8, v41, 0
	ds_read2_b32 v[2:3], v0 offset0:12 offset1:188
	v_lshrrev_b32_e32 v15, 16, v8
	v_mov_b32_e32 v0, v13
	v_mad_u64_u32 v[7:8], s[2:3], s9, v41, v[0:1]
	s_waitcnt lgkmcnt(0)
	v_lshrrev_b32_e32 v0, 16, v2
	v_mul_f16_sdwa v8, v40, v0 dst_sel:DWORD dst_unused:UNUSED_PAD src0_sel:WORD_1 src1_sel:DWORD
	v_fma_f16 v8, v40, v2, v8
	v_cvt_f32_f16_e32 v8, v8
	v_mov_b32_e32 v13, v7
	v_and_or_b32 v14, v15, s17, v14
	v_and_b32_e32 v9, 0xffff, v9
	v_cvt_f64_f32_e32 v[7:8], v8
	v_lshl_or_b32 v9, v14, 16, v9
	v_mov_b32_e32 v14, s13
	v_add_co_u32_e32 v15, vcc, s12, v4
	v_mul_f64 v[7:8], v[7:8], s[6:7]
	v_addc_co_u32_e32 v14, vcc, v14, v5, vcc
	v_lshlrev_b64 v[4:5], 2, v[12:13]
	v_mul_f16_sdwa v2, v40, v2 dst_sel:DWORD dst_unused:UNUSED_PAD src0_sel:WORD_1 src1_sel:DWORD
	v_add_co_u32_e32 v12, vcc, v15, v4
	v_addc_co_u32_e32 v13, vcc, v14, v5, vcc
	v_and_or_b32 v4, v8, s14, v7
	v_cmp_ne_u32_e32 vcc, 0, v4
	v_cndmask_b32_e64 v4, 0, 1, vcc
	v_lshrrev_b32_e32 v5, 8, v8
	v_and_or_b32 v7, v5, s15, v4
	v_bfe_u32 v5, v8, 20, 11
	global_store_dword v[12:13], v9, off
	v_sub_u32_e32 v9, 0x3f1, v5
	v_or_b32_e32 v4, 0x1000, v7
	v_med3_i32 v9, v9, 0, 13
	v_lshrrev_b32_e32 v14, v9, v4
	v_lshlrev_b32_e32 v9, v9, v14
	v_cmp_ne_u32_e32 vcc, v9, v4
	v_fma_f16 v0, v40, v0, -v2
	v_cndmask_b32_e64 v4, 0, 1, vcc
	v_add_u32_e32 v9, 0xfffffc10, v5
	v_cvt_f32_f16_e32 v0, v0
	v_or_b32_e32 v4, v14, v4
	v_lshl_or_b32 v5, v9, 12, v7
	v_cmp_gt_i32_e32 vcc, 1, v9
	v_cndmask_b32_e32 v4, v5, v4, vcc
	v_and_b32_e32 v5, 7, v4
	v_cmp_lt_i32_e32 vcc, 5, v5
	v_cmp_eq_u32_e64 s[2:3], 3, v5
	v_lshrrev_b32_e32 v2, 2, v4
	v_cvt_f64_f32_e32 v[4:5], v0
	s_or_b64 vcc, s[2:3], vcc
	v_addc_co_u32_e32 v0, vcc, 0, v2, vcc
	v_mul_f64 v[14:15], v[4:5], s[6:7]
	v_cmp_gt_i32_e32 vcc, 31, v9
	v_cndmask_b32_e32 v0, v6, v0, vcc
	v_cmp_ne_u32_e32 vcc, 0, v7
	v_cndmask_b32_e64 v2, 0, 1, vcc
	v_lshl_or_b32 v2, v2, 9, v6
	v_cmp_eq_u32_e32 vcc, s16, v9
	v_cndmask_b32_e32 v0, v0, v2, vcc
	v_lshrrev_b32_e32 v2, 16, v8
	v_and_or_b32 v0, v2, s17, v0
	v_and_or_b32 v2, v15, s14, v14
	v_cmp_ne_u32_e32 vcc, 0, v2
	v_cndmask_b32_e64 v2, 0, 1, vcc
	v_lshrrev_b32_e32 v4, 8, v15
	v_bfe_u32 v5, v15, 20, 11
	v_and_or_b32 v2, v4, s15, v2
	v_sub_u32_e32 v7, 0x3f1, v5
	v_or_b32_e32 v4, 0x1000, v2
	v_med3_i32 v7, v7, 0, 13
	v_lshrrev_b32_e32 v8, v7, v4
	v_lshlrev_b32_e32 v7, v7, v8
	v_cmp_ne_u32_e32 vcc, v7, v4
	v_cndmask_b32_e64 v4, 0, 1, vcc
	v_add_u32_e32 v7, 0xfffffc10, v5
	v_or_b32_e32 v4, v8, v4
	v_lshl_or_b32 v5, v7, 12, v2
	v_cmp_gt_i32_e32 vcc, 1, v7
	v_cndmask_b32_e32 v4, v5, v4, vcc
	v_and_b32_e32 v5, 7, v4
	v_cmp_lt_i32_e32 vcc, 5, v5
	v_cmp_eq_u32_e64 s[2:3], 3, v5
	v_lshrrev_b32_e32 v4, 2, v4
	s_or_b64 vcc, s[2:3], vcc
	v_addc_co_u32_e32 v4, vcc, 0, v4, vcc
	v_cmp_gt_i32_e32 vcc, 31, v7
	v_cndmask_b32_e32 v8, v6, v4, vcc
	v_add_u32_e32 v4, 0xc00, v33
	ds_read2_b32 v[4:5], v4 offset0:24 offset1:200
	v_cmp_ne_u32_e32 vcc, 0, v2
	v_cndmask_b32_e64 v2, 0, 1, vcc
	v_lshl_or_b32 v2, v2, 9, v6
	v_cmp_eq_u32_e32 vcc, s16, v7
	v_cndmask_b32_e32 v2, v8, v2, vcc
	v_lshrrev_b32_e32 v7, 16, v15
	s_waitcnt lgkmcnt(0)
	v_lshrrev_b32_e32 v9, 16, v4
	v_and_or_b32 v2, v7, s17, v2
	v_mul_f16_sdwa v7, v39, v9 dst_sel:DWORD dst_unused:UNUSED_PAD src0_sel:WORD_1 src1_sel:DWORD
	v_fma_f16 v7, v39, v4, v7
	v_cvt_f32_f16_e32 v7, v7
	s_mul_i32 s2, s9, 0x18c
	s_mul_hi_u32 s3, s8, 0x18c
	s_add_i32 s3, s3, s2
	v_cvt_f64_f32_e32 v[7:8], v7
	s_mul_i32 s2, s8, 0x18c
	v_and_b32_e32 v0, 0xffff, v0
	s_lshl_b64 s[10:11], s[2:3], 2
	v_mul_f64 v[7:8], v[7:8], s[6:7]
	v_lshl_or_b32 v0, v2, 16, v0
	v_mov_b32_e32 v2, s11
	v_add_co_u32_e32 v12, vcc, s10, v12
	v_addc_co_u32_e32 v13, vcc, v13, v2, vcc
	global_store_dword v[12:13], v0, off
	v_and_or_b32 v0, v8, s14, v7
	v_cmp_ne_u32_e32 vcc, 0, v0
	v_cndmask_b32_e64 v0, 0, 1, vcc
	v_lshrrev_b32_e32 v7, 8, v8
	v_bfe_u32 v14, v8, 20, 11
	v_and_or_b32 v0, v7, s15, v0
	v_sub_u32_e32 v15, 0x3f1, v14
	v_or_b32_e32 v7, 0x1000, v0
	v_med3_i32 v15, v15, 0, 13
	v_lshrrev_b32_e32 v16, v15, v7
	v_lshlrev_b32_e32 v15, v15, v16
	v_cmp_ne_u32_e32 vcc, v15, v7
	v_mul_f16_sdwa v4, v39, v4 dst_sel:DWORD dst_unused:UNUSED_PAD src0_sel:WORD_1 src1_sel:DWORD
	v_cndmask_b32_e64 v7, 0, 1, vcc
	v_fma_f16 v4, v39, v9, -v4
	v_or_b32_e32 v7, v16, v7
	v_add_u32_e32 v16, 0xfffffc10, v14
	v_cvt_f32_f16_e32 v4, v4
	v_lshl_or_b32 v14, v16, 12, v0
	v_cmp_gt_i32_e32 vcc, 1, v16
	v_cndmask_b32_e32 v7, v14, v7, vcc
	v_and_b32_e32 v14, 7, v7
	v_cmp_lt_i32_e32 vcc, 5, v14
	v_cmp_eq_u32_e64 s[2:3], 3, v14
	v_cvt_f64_f32_e32 v[14:15], v4
	v_lshrrev_b32_e32 v7, 2, v7
	s_or_b64 vcc, s[2:3], vcc
	v_addc_co_u32_e32 v4, vcc, 0, v7, vcc
	v_mul_f64 v[14:15], v[14:15], s[6:7]
	v_cmp_gt_i32_e32 vcc, 31, v16
	v_cndmask_b32_e32 v4, v6, v4, vcc
	v_cmp_ne_u32_e32 vcc, 0, v0
	v_cndmask_b32_e64 v0, 0, 1, vcc
	v_lshl_or_b32 v0, v0, 9, v6
	v_cmp_eq_u32_e32 vcc, s16, v16
	v_cndmask_b32_e32 v0, v4, v0, vcc
	v_lshrrev_b32_e32 v4, 16, v8
	v_and_or_b32 v0, v4, s17, v0
	v_and_or_b32 v4, v15, s14, v14
	v_cmp_ne_u32_e32 vcc, 0, v4
	v_cndmask_b32_e64 v4, 0, 1, vcc
	v_lshrrev_b32_e32 v7, 8, v15
	v_bfe_u32 v8, v15, 20, 11
	v_and_or_b32 v4, v7, s15, v4
	v_sub_u32_e32 v9, 0x3f1, v8
	v_or_b32_e32 v7, 0x1000, v4
	v_med3_i32 v9, v9, 0, 13
	v_lshrrev_b32_e32 v14, v9, v7
	v_lshlrev_b32_e32 v9, v9, v14
	v_cmp_ne_u32_e32 vcc, v9, v7
	v_cndmask_b32_e64 v7, 0, 1, vcc
	v_add_u32_e32 v9, 0xfffffc10, v8
	v_or_b32_e32 v7, v14, v7
	v_lshl_or_b32 v8, v9, 12, v4
	v_cmp_gt_i32_e32 vcc, 1, v9
	v_cndmask_b32_e32 v7, v8, v7, vcc
	v_and_b32_e32 v8, 7, v7
	v_lshrrev_b32_e32 v14, 2, v7
	v_add_u32_e32 v7, 0x1200, v33
	v_cmp_lt_i32_e32 vcc, 5, v8
	v_cmp_eq_u32_e64 s[2:3], 3, v8
	ds_read2_b32 v[7:8], v7 offset0:36 offset1:212
	s_or_b64 vcc, s[2:3], vcc
	v_addc_co_u32_e32 v14, vcc, 0, v14, vcc
	v_cmp_gt_i32_e32 vcc, 31, v9
	s_waitcnt lgkmcnt(0)
	v_lshrrev_b32_e32 v18, 16, v7
	v_mul_f16_sdwa v16, v38, v18 dst_sel:DWORD dst_unused:UNUSED_PAD src0_sel:WORD_1 src1_sel:DWORD
	v_fma_f16 v16, v38, v7, v16
	v_cvt_f32_f16_e32 v16, v16
	v_cndmask_b32_e32 v14, v6, v14, vcc
	v_cmp_ne_u32_e32 vcc, 0, v4
	v_cndmask_b32_e64 v4, 0, 1, vcc
	v_cvt_f64_f32_e32 v[16:17], v16
	v_lshl_or_b32 v4, v4, 9, v6
	v_cmp_eq_u32_e32 vcc, s16, v9
	v_cndmask_b32_e32 v4, v14, v4, vcc
	v_lshrrev_b32_e32 v9, 16, v15
	v_mul_f64 v[14:15], v[16:17], s[6:7]
	v_and_or_b32 v4, v9, s17, v4
	v_and_b32_e32 v0, 0xffff, v0
	v_add_co_u32_e32 v12, vcc, s10, v12
	v_lshl_or_b32 v0, v4, 16, v0
	v_addc_co_u32_e32 v13, vcc, v13, v2, vcc
	global_store_dword v[12:13], v0, off
	v_and_or_b32 v0, v15, s14, v14
	v_cmp_ne_u32_e32 vcc, 0, v0
	v_cndmask_b32_e64 v0, 0, 1, vcc
	v_lshrrev_b32_e32 v4, 8, v15
	v_bfe_u32 v9, v15, 20, 11
	v_and_or_b32 v0, v4, s15, v0
	v_sub_u32_e32 v14, 0x3f1, v9
	v_mul_f16_sdwa v7, v38, v7 dst_sel:DWORD dst_unused:UNUSED_PAD src0_sel:WORD_1 src1_sel:DWORD
	v_or_b32_e32 v4, 0x1000, v0
	v_med3_i32 v14, v14, 0, 13
	v_fma_f16 v7, v38, v18, -v7
	v_lshrrev_b32_e32 v16, v14, v4
	v_cvt_f32_f16_e32 v7, v7
	v_lshlrev_b32_e32 v14, v14, v16
	v_cmp_ne_u32_e32 vcc, v14, v4
	v_cndmask_b32_e64 v4, 0, 1, vcc
	v_or_b32_e32 v4, v16, v4
	v_add_u32_e32 v9, 0xfffffc10, v9
	v_cvt_f64_f32_e32 v[16:17], v7
	v_lshl_or_b32 v14, v9, 12, v0
	v_cmp_gt_i32_e32 vcc, 1, v9
	v_cndmask_b32_e32 v4, v14, v4, vcc
	v_and_b32_e32 v14, 7, v4
	v_cmp_lt_i32_e32 vcc, 5, v14
	v_cmp_eq_u32_e64 s[2:3], 3, v14
	v_mul_f64 v[16:17], v[16:17], s[6:7]
	v_lshrrev_b32_e32 v4, 2, v4
	s_or_b64 vcc, s[2:3], vcc
	v_addc_co_u32_e32 v4, vcc, 0, v4, vcc
	v_cmp_gt_i32_e32 vcc, 31, v9
	v_cndmask_b32_e32 v4, v6, v4, vcc
	v_cmp_ne_u32_e32 vcc, 0, v0
	v_cndmask_b32_e64 v0, 0, 1, vcc
	v_lshl_or_b32 v0, v0, 9, v6
	v_cmp_eq_u32_e32 vcc, s16, v9
	v_cndmask_b32_e32 v0, v4, v0, vcc
	v_lshrrev_b32_e32 v4, 16, v15
	v_and_or_b32 v0, v4, s17, v0
	v_and_or_b32 v4, v17, s14, v16
	v_cmp_ne_u32_e32 vcc, 0, v4
	v_cndmask_b32_e64 v4, 0, 1, vcc
	v_lshrrev_b32_e32 v7, 8, v17
	v_bfe_u32 v9, v17, 20, 11
	v_and_or_b32 v4, v7, s15, v4
	v_sub_u32_e32 v14, 0x3f1, v9
	v_or_b32_e32 v7, 0x1000, v4
	v_med3_i32 v14, v14, 0, 13
	v_lshrrev_b32_e32 v15, v14, v7
	v_lshlrev_b32_e32 v14, v14, v15
	v_cmp_ne_u32_e32 vcc, v14, v7
	v_cndmask_b32_e64 v7, 0, 1, vcc
	v_add_u32_e32 v9, 0xfffffc10, v9
	v_or_b32_e32 v7, v15, v7
	v_lshl_or_b32 v14, v9, 12, v4
	v_cmp_gt_i32_e32 vcc, 1, v9
	v_cndmask_b32_e32 v7, v14, v7, vcc
	v_and_b32_e32 v14, 7, v7
	v_lshrrev_b32_e32 v16, 16, v1
	v_cmp_lt_i32_e32 vcc, 5, v14
	v_cmp_eq_u32_e64 s[2:3], 3, v14
	v_mul_f16_sdwa v14, v37, v16 dst_sel:DWORD dst_unused:UNUSED_PAD src0_sel:WORD_1 src1_sel:DWORD
	v_fma_f16 v14, v37, v1, v14
	v_cvt_f32_f16_e32 v14, v14
	v_lshrrev_b32_e32 v7, 2, v7
	s_or_b64 vcc, s[2:3], vcc
	v_addc_co_u32_e32 v7, vcc, 0, v7, vcc
	v_cvt_f64_f32_e32 v[14:15], v14
	v_cmp_gt_i32_e32 vcc, 31, v9
	v_cndmask_b32_e32 v7, v6, v7, vcc
	v_cmp_ne_u32_e32 vcc, 0, v4
	v_mul_f64 v[14:15], v[14:15], s[6:7]
	v_cndmask_b32_e64 v4, 0, 1, vcc
	v_lshl_or_b32 v4, v4, 9, v6
	v_cmp_eq_u32_e32 vcc, s16, v9
	v_cndmask_b32_e32 v4, v7, v4, vcc
	v_lshrrev_b32_e32 v7, 16, v17
	v_and_or_b32 v4, v7, s17, v4
	v_and_b32_e32 v0, 0xffff, v0
	v_add_co_u32_e32 v12, vcc, s10, v12
	v_lshl_or_b32 v0, v4, 16, v0
	v_addc_co_u32_e32 v13, vcc, v13, v2, vcc
	global_store_dword v[12:13], v0, off
	v_and_or_b32 v0, v15, s14, v14
	v_cmp_ne_u32_e32 vcc, 0, v0
	v_cndmask_b32_e64 v0, 0, 1, vcc
	v_lshrrev_b32_e32 v4, 8, v15
	v_bfe_u32 v7, v15, 20, 11
	v_and_or_b32 v4, v4, s15, v0
	v_sub_u32_e32 v9, 0x3f1, v7
	v_or_b32_e32 v0, 0x1000, v4
	v_med3_i32 v9, v9, 0, 13
	v_lshrrev_b32_e32 v14, v9, v0
	v_lshlrev_b32_e32 v9, v9, v14
	v_mul_f16_sdwa v1, v37, v1 dst_sel:DWORD dst_unused:UNUSED_PAD src0_sel:WORD_1 src1_sel:DWORD
	v_cmp_ne_u32_e32 vcc, v9, v0
	v_fma_f16 v1, v37, v16, -v1
	v_cndmask_b32_e64 v0, 0, 1, vcc
	v_add_u32_e32 v7, 0xfffffc10, v7
	v_cvt_f32_f16_e32 v1, v1
	v_or_b32_e32 v0, v14, v0
	v_lshl_or_b32 v9, v7, 12, v4
	v_cmp_gt_i32_e32 vcc, 1, v7
	v_cndmask_b32_e32 v0, v9, v0, vcc
	v_and_b32_e32 v9, 7, v0
	v_cmp_lt_i32_e32 vcc, 5, v9
	v_cmp_eq_u32_e64 s[2:3], 3, v9
	v_lshrrev_b32_e32 v9, 2, v0
	v_cvt_f64_f32_e32 v[0:1], v1
	s_or_b64 vcc, s[2:3], vcc
	v_addc_co_u32_e32 v9, vcc, 0, v9, vcc
	v_mul_f64 v[0:1], v[0:1], s[6:7]
	v_cmp_gt_i32_e32 vcc, 31, v7
	v_cndmask_b32_e32 v9, v6, v9, vcc
	v_cmp_ne_u32_e32 vcc, 0, v4
	v_cndmask_b32_e64 v4, 0, 1, vcc
	v_lshl_or_b32 v4, v4, 9, v6
	v_cmp_eq_u32_e32 vcc, s16, v7
	v_cndmask_b32_e32 v4, v9, v4, vcc
	v_and_or_b32 v0, v1, s14, v0
	v_lshrrev_b32_e32 v7, 16, v15
	v_cmp_ne_u32_e32 vcc, 0, v0
	v_and_or_b32 v4, v7, s17, v4
	v_cndmask_b32_e64 v0, 0, 1, vcc
	v_lshrrev_b32_e32 v7, 8, v1
	v_bfe_u32 v9, v1, 20, 11
	v_and_or_b32 v0, v7, s15, v0
	v_sub_u32_e32 v14, 0x3f1, v9
	v_or_b32_e32 v7, 0x1000, v0
	v_med3_i32 v14, v14, 0, 13
	v_lshrrev_b32_e32 v15, v14, v7
	v_lshlrev_b32_e32 v14, v14, v15
	v_cmp_ne_u32_e32 vcc, v14, v7
	v_cndmask_b32_e64 v7, 0, 1, vcc
	v_add_u32_e32 v9, 0xfffffc10, v9
	v_or_b32_e32 v7, v15, v7
	v_lshl_or_b32 v14, v9, 12, v0
	v_cmp_gt_i32_e32 vcc, 1, v9
	v_cndmask_b32_e32 v7, v14, v7, vcc
	v_and_b32_e32 v14, 7, v7
	v_cmp_lt_i32_e32 vcc, 5, v14
	v_cmp_eq_u32_e64 s[2:3], 3, v14
	v_lshrrev_b32_e32 v7, 2, v7
	s_or_b64 vcc, s[2:3], vcc
	v_addc_co_u32_e32 v7, vcc, 0, v7, vcc
	v_cmp_gt_i32_e32 vcc, 31, v9
	v_cndmask_b32_e32 v7, v6, v7, vcc
	v_cmp_ne_u32_e32 vcc, 0, v0
	v_cndmask_b32_e64 v0, 0, 1, vcc
	v_lshl_or_b32 v0, v0, 9, v6
	v_cmp_eq_u32_e32 vcc, s16, v9
	v_cndmask_b32_e32 v0, v7, v0, vcc
	v_lshrrev_b32_e32 v1, 16, v1
	v_lshrrev_b32_e32 v9, 16, v3
	v_and_or_b32 v7, v1, s17, v0
	v_mul_f16_sdwa v0, v36, v9 dst_sel:DWORD dst_unused:UNUSED_PAD src0_sel:WORD_1 src1_sel:DWORD
	v_fma_f16 v0, v36, v3, v0
	v_cvt_f32_f16_e32 v0, v0
	s_mul_hi_u32 s3, s8, 0xfffffc0c
	s_mul_i32 s2, s9, 0xfffffc0c
	s_sub_i32 s3, s3, s8
	v_cvt_f64_f32_e32 v[0:1], v0
	s_add_i32 s3, s3, s2
	s_mul_i32 s2, s8, 0xfffffc0c
	v_and_b32_e32 v4, 0xffff, v4
	v_mul_f64 v[0:1], v[0:1], s[6:7]
	s_lshl_b64 s[4:5], s[2:3], 2
	v_lshl_or_b32 v4, v7, 16, v4
	v_mov_b32_e32 v7, s5
	v_add_co_u32_e32 v12, vcc, s4, v12
	v_addc_co_u32_e32 v13, vcc, v13, v7, vcc
	v_and_or_b32 v0, v1, s14, v0
	v_cmp_ne_u32_e32 vcc, 0, v0
	global_store_dword v[12:13], v4, off
	v_cndmask_b32_e64 v0, 0, 1, vcc
	v_lshrrev_b32_e32 v4, 8, v1
	v_bfe_u32 v7, v1, 20, 11
	v_and_or_b32 v0, v4, s15, v0
	v_sub_u32_e32 v14, 0x3f1, v7
	v_or_b32_e32 v4, 0x1000, v0
	v_med3_i32 v14, v14, 0, 13
	v_lshrrev_b32_e32 v15, v14, v4
	v_mul_f16_sdwa v3, v36, v3 dst_sel:DWORD dst_unused:UNUSED_PAD src0_sel:WORD_1 src1_sel:DWORD
	v_lshlrev_b32_e32 v14, v14, v15
	v_fma_f16 v3, v36, v9, -v3
	v_cmp_ne_u32_e32 vcc, v14, v4
	v_cvt_f32_f16_e32 v3, v3
	v_cndmask_b32_e64 v4, 0, 1, vcc
	v_add_u32_e32 v7, 0xfffffc10, v7
	v_or_b32_e32 v4, v15, v4
	v_lshl_or_b32 v14, v7, 12, v0
	v_cmp_gt_i32_e32 vcc, 1, v7
	v_cndmask_b32_e32 v4, v14, v4, vcc
	v_and_b32_e32 v14, 7, v4
	v_lshrrev_b32_e32 v9, 2, v4
	v_cvt_f64_f32_e32 v[3:4], v3
	v_cmp_lt_i32_e32 vcc, 5, v14
	v_cmp_eq_u32_e64 s[2:3], 3, v14
	s_or_b64 vcc, s[2:3], vcc
	v_mul_f64 v[3:4], v[3:4], s[6:7]
	v_addc_co_u32_e32 v9, vcc, 0, v9, vcc
	v_cmp_gt_i32_e32 vcc, 31, v7
	v_cndmask_b32_e32 v9, v6, v9, vcc
	v_cmp_ne_u32_e32 vcc, 0, v0
	v_cndmask_b32_e64 v0, 0, 1, vcc
	v_lshl_or_b32 v0, v0, 9, v6
	v_cmp_eq_u32_e32 vcc, s16, v7
	v_cndmask_b32_e32 v0, v9, v0, vcc
	v_lshrrev_b32_e32 v1, 16, v1
	v_and_or_b32 v7, v1, s17, v0
	v_and_or_b32 v0, v4, s14, v3
	v_cmp_ne_u32_e32 vcc, 0, v0
	v_cndmask_b32_e64 v0, 0, 1, vcc
	v_lshrrev_b32_e32 v1, 8, v4
	v_bfe_u32 v3, v4, 20, 11
	v_and_or_b32 v0, v1, s15, v0
	v_sub_u32_e32 v9, 0x3f1, v3
	v_or_b32_e32 v1, 0x1000, v0
	v_med3_i32 v9, v9, 0, 13
	v_lshrrev_b32_e32 v14, v9, v1
	v_lshlrev_b32_e32 v9, v9, v14
	v_cmp_ne_u32_e32 vcc, v9, v1
	v_cndmask_b32_e64 v1, 0, 1, vcc
	v_add_u32_e32 v3, 0xfffffc10, v3
	v_or_b32_e32 v1, v14, v1
	v_lshl_or_b32 v9, v3, 12, v0
	v_cmp_gt_i32_e32 vcc, 1, v3
	v_cndmask_b32_e32 v1, v9, v1, vcc
	v_and_b32_e32 v9, 7, v1
	v_cmp_lt_i32_e32 vcc, 5, v9
	v_cmp_eq_u32_e64 s[2:3], 3, v9
	v_lshrrev_b32_e32 v1, 2, v1
	s_or_b64 vcc, s[2:3], vcc
	v_addc_co_u32_e32 v1, vcc, 0, v1, vcc
	v_cmp_gt_i32_e32 vcc, 31, v3
	v_lshrrev_b32_e32 v14, 16, v5
	v_cndmask_b32_e32 v9, v6, v1, vcc
	v_mul_f16_sdwa v1, v35, v14 dst_sel:DWORD dst_unused:UNUSED_PAD src0_sel:WORD_1 src1_sel:DWORD
	v_fma_f16 v1, v35, v5, v1
	v_cvt_f32_f16_e32 v1, v1
	v_cmp_ne_u32_e32 vcc, 0, v0
	v_cndmask_b32_e64 v0, 0, 1, vcc
	v_lshl_or_b32 v15, v0, 9, v6
	v_cvt_f64_f32_e32 v[0:1], v1
	v_cmp_eq_u32_e32 vcc, s16, v3
	v_cndmask_b32_e32 v3, v9, v15, vcc
	v_lshrrev_b32_e32 v4, 16, v4
	v_mul_f64 v[0:1], v[0:1], s[6:7]
	v_and_or_b32 v3, v4, s17, v3
	v_and_b32_e32 v4, 0xffff, v7
	v_lshl_or_b32 v7, v3, 16, v4
	v_add_co_u32_e32 v3, vcc, s10, v12
	v_addc_co_u32_e32 v4, vcc, v13, v2, vcc
	v_and_or_b32 v0, v1, s14, v0
	v_cmp_ne_u32_e32 vcc, 0, v0
	global_store_dword v[3:4], v7, off
	v_cndmask_b32_e64 v0, 0, 1, vcc
	v_lshrrev_b32_e32 v7, 8, v1
	v_bfe_u32 v9, v1, 20, 11
	v_and_or_b32 v0, v7, s15, v0
	v_sub_u32_e32 v12, 0x3f1, v9
	v_or_b32_e32 v7, 0x1000, v0
	v_med3_i32 v12, v12, 0, 13
	v_lshrrev_b32_e32 v13, v12, v7
	v_lshlrev_b32_e32 v12, v12, v13
	v_mul_f16_sdwa v5, v35, v5 dst_sel:DWORD dst_unused:UNUSED_PAD src0_sel:WORD_1 src1_sel:DWORD
	v_cmp_ne_u32_e32 vcc, v12, v7
	v_fma_f16 v5, v35, v14, -v5
	v_cndmask_b32_e64 v7, 0, 1, vcc
	v_add_u32_e32 v9, 0xfffffc10, v9
	v_cvt_f32_f16_e32 v5, v5
	v_or_b32_e32 v7, v13, v7
	v_lshl_or_b32 v12, v9, 12, v0
	v_cmp_gt_i32_e32 vcc, 1, v9
	v_cndmask_b32_e32 v7, v12, v7, vcc
	v_and_b32_e32 v12, 7, v7
	v_cmp_lt_i32_e32 vcc, 5, v12
	v_cmp_eq_u32_e64 s[2:3], 3, v12
	v_cvt_f64_f32_e32 v[12:13], v5
	v_lshrrev_b32_e32 v7, 2, v7
	s_or_b64 vcc, s[2:3], vcc
	v_addc_co_u32_e32 v5, vcc, 0, v7, vcc
	v_mul_f64 v[12:13], v[12:13], s[6:7]
	v_cmp_gt_i32_e32 vcc, 31, v9
	v_cndmask_b32_e32 v5, v6, v5, vcc
	v_cmp_ne_u32_e32 vcc, 0, v0
	v_cndmask_b32_e64 v0, 0, 1, vcc
	v_lshl_or_b32 v0, v0, 9, v6
	v_cmp_eq_u32_e32 vcc, s16, v9
	v_cndmask_b32_e32 v0, v5, v0, vcc
	v_lshrrev_b32_e32 v1, 16, v1
	v_and_or_b32 v5, v1, s17, v0
	v_and_or_b32 v0, v13, s14, v12
	v_cmp_ne_u32_e32 vcc, 0, v0
	v_cndmask_b32_e64 v0, 0, 1, vcc
	v_lshrrev_b32_e32 v1, 8, v13
	v_bfe_u32 v7, v13, 20, 11
	v_and_or_b32 v0, v1, s15, v0
	v_sub_u32_e32 v9, 0x3f1, v7
	v_or_b32_e32 v1, 0x1000, v0
	v_med3_i32 v9, v9, 0, 13
	v_lshrrev_b32_e32 v12, v9, v1
	v_lshlrev_b32_e32 v9, v9, v12
	v_cmp_ne_u32_e32 vcc, v9, v1
	v_cndmask_b32_e64 v1, 0, 1, vcc
	v_add_u32_e32 v7, 0xfffffc10, v7
	v_or_b32_e32 v1, v12, v1
	v_lshl_or_b32 v9, v7, 12, v0
	v_cmp_gt_i32_e32 vcc, 1, v7
	v_cndmask_b32_e32 v1, v9, v1, vcc
	v_and_b32_e32 v9, 7, v1
	v_cmp_lt_i32_e32 vcc, 5, v9
	v_cmp_eq_u32_e64 s[2:3], 3, v9
	v_lshrrev_b32_e32 v1, 2, v1
	s_or_b64 vcc, s[2:3], vcc
	v_addc_co_u32_e32 v1, vcc, 0, v1, vcc
	v_cmp_gt_i32_e32 vcc, 31, v7
	v_lshrrev_b32_e32 v12, 16, v8
	v_cndmask_b32_e32 v9, v6, v1, vcc
	v_mul_f16_sdwa v1, v34, v12 dst_sel:DWORD dst_unused:UNUSED_PAD src0_sel:WORD_1 src1_sel:DWORD
	v_fma_f16 v1, v34, v8, v1
	v_cvt_f32_f16_e32 v1, v1
	v_cmp_ne_u32_e32 vcc, 0, v0
	v_cndmask_b32_e64 v0, 0, 1, vcc
	v_lshl_or_b32 v14, v0, 9, v6
	v_cvt_f64_f32_e32 v[0:1], v1
	v_cmp_eq_u32_e32 vcc, s16, v7
	v_cndmask_b32_e32 v7, v9, v14, vcc
	v_lshrrev_b32_e32 v9, 16, v13
	v_mul_f64 v[0:1], v[0:1], s[6:7]
	v_add_co_u32_e32 v3, vcc, s10, v3
	v_and_or_b32 v7, v9, s17, v7
	v_and_b32_e32 v5, 0xffff, v5
	v_addc_co_u32_e32 v4, vcc, v4, v2, vcc
	v_lshl_or_b32 v5, v7, 16, v5
	v_and_or_b32 v0, v1, s14, v0
	v_cmp_ne_u32_e32 vcc, 0, v0
	global_store_dword v[3:4], v5, off
	v_cndmask_b32_e64 v0, 0, 1, vcc
	v_lshrrev_b32_e32 v5, 8, v1
	v_bfe_u32 v7, v1, 20, 11
	v_and_or_b32 v0, v5, s15, v0
	v_sub_u32_e32 v9, 0x3f1, v7
	v_or_b32_e32 v5, 0x1000, v0
	v_med3_i32 v9, v9, 0, 13
	v_lshrrev_b32_e32 v13, v9, v5
	v_lshlrev_b32_e32 v9, v9, v13
	v_mul_f16_sdwa v8, v34, v8 dst_sel:DWORD dst_unused:UNUSED_PAD src0_sel:WORD_1 src1_sel:DWORD
	v_cmp_ne_u32_e32 vcc, v9, v5
	v_fma_f16 v8, v34, v12, -v8
	v_cndmask_b32_e64 v5, 0, 1, vcc
	v_add_u32_e32 v9, 0xfffffc10, v7
	v_cvt_f32_f16_e32 v8, v8
	v_or_b32_e32 v5, v13, v5
	v_lshl_or_b32 v7, v9, 12, v0
	v_cmp_gt_i32_e32 vcc, 1, v9
	v_cndmask_b32_e32 v5, v7, v5, vcc
	v_and_b32_e32 v7, 7, v5
	v_cmp_lt_i32_e32 vcc, 5, v7
	v_cmp_eq_u32_e64 s[2:3], 3, v7
	v_cvt_f64_f32_e32 v[7:8], v8
	v_lshrrev_b32_e32 v5, 2, v5
	s_or_b64 vcc, s[2:3], vcc
	v_addc_co_u32_e32 v5, vcc, 0, v5, vcc
	v_mul_f64 v[7:8], v[7:8], s[6:7]
	v_cmp_gt_i32_e32 vcc, 31, v9
	v_cndmask_b32_e32 v5, v6, v5, vcc
	v_cmp_ne_u32_e32 vcc, 0, v0
	v_cndmask_b32_e64 v0, 0, 1, vcc
	v_lshl_or_b32 v0, v0, 9, v6
	v_cmp_eq_u32_e32 vcc, s16, v9
	v_cndmask_b32_e32 v0, v5, v0, vcc
	v_lshrrev_b32_e32 v1, 16, v1
	v_and_or_b32 v0, v1, s17, v0
	v_and_or_b32 v1, v8, s14, v7
	v_cmp_ne_u32_e32 vcc, 0, v1
	v_cndmask_b32_e64 v1, 0, 1, vcc
	v_lshrrev_b32_e32 v5, 8, v8
	v_bfe_u32 v7, v8, 20, 11
	v_and_or_b32 v1, v5, s15, v1
	v_sub_u32_e32 v9, 0x3f1, v7
	v_or_b32_e32 v5, 0x1000, v1
	v_med3_i32 v9, v9, 0, 13
	v_lshrrev_b32_e32 v12, v9, v5
	v_lshlrev_b32_e32 v9, v9, v12
	v_cmp_ne_u32_e32 vcc, v9, v5
	v_cndmask_b32_e64 v5, 0, 1, vcc
	v_add_u32_e32 v7, 0xfffffc10, v7
	v_or_b32_e32 v5, v12, v5
	v_lshl_or_b32 v9, v7, 12, v1
	v_cmp_gt_i32_e32 vcc, 1, v7
	v_cndmask_b32_e32 v5, v9, v5, vcc
	v_and_b32_e32 v9, 7, v5
	v_cmp_lt_i32_e32 vcc, 5, v9
	v_cmp_eq_u32_e64 s[2:3], 3, v9
	v_lshrrev_b32_e32 v5, 2, v5
	s_or_b64 vcc, s[2:3], vcc
	v_addc_co_u32_e32 v5, vcc, 0, v5, vcc
	v_cmp_gt_i32_e32 vcc, 31, v7
	v_cndmask_b32_e32 v5, v6, v5, vcc
	v_cmp_ne_u32_e32 vcc, 0, v1
	v_cndmask_b32_e64 v1, 0, 1, vcc
	v_lshl_or_b32 v1, v1, 9, v6
	v_cmp_eq_u32_e32 vcc, s16, v7
	v_cndmask_b32_e32 v1, v5, v1, vcc
	v_lshrrev_b32_e32 v5, 16, v8
	v_and_or_b32 v1, v5, s17, v1
	v_and_b32_e32 v0, 0xffff, v0
	v_lshl_or_b32 v5, v1, 16, v0
	v_add_co_u32_e32 v0, vcc, s10, v3
	v_addc_co_u32_e32 v1, vcc, v4, v2, vcc
	global_store_dword v[0:1], v5, off
	s_and_b64 exec, exec, s[0:1]
	s_cbranch_execz .LBB0_39
; %bb.38:
	global_load_dword v2, v[10:11], off offset:1408
	global_load_dword v12, v[10:11], off offset:2992
	ds_read_b32 v3, v33 offset:1408
	ds_read_b32 v13, v33 offset:2992
	;; [unrolled: 1-line block ×4, first 2 shown]
	v_mov_b32_e32 v14, s5
	s_waitcnt lgkmcnt(3)
	v_lshrrev_b32_e32 v4, 16, v3
	s_waitcnt lgkmcnt(2)
	v_lshrrev_b32_e32 v17, 16, v13
	s_waitcnt vmcnt(1)
	v_mul_f16_sdwa v5, v4, v2 dst_sel:DWORD dst_unused:UNUSED_PAD src0_sel:DWORD src1_sel:WORD_1
	v_mul_f16_sdwa v7, v3, v2 dst_sel:DWORD dst_unused:UNUSED_PAD src0_sel:DWORD src1_sel:WORD_1
	s_waitcnt vmcnt(0)
	v_mul_f16_sdwa v8, v17, v12 dst_sel:DWORD dst_unused:UNUSED_PAD src0_sel:DWORD src1_sel:WORD_1
	v_fma_f16 v3, v3, v2, v5
	v_fma_f16 v2, v2, v4, -v7
	v_add_co_u32_e32 v7, vcc, s18, v10
	v_cvt_f32_f16_e32 v4, v2
	v_fma_f16 v2, v13, v12, v8
	v_addc_co_u32_e32 v8, vcc, 0, v11, vcc
	global_load_dword v11, v[7:8], off offset:480
	v_cvt_f32_f16_e32 v3, v3
	v_cvt_f32_f16_e32 v9, v2
	v_cvt_f64_f32_e32 v[4:5], v4
	v_add_co_u32_e32 v0, vcc, s4, v0
	v_cvt_f64_f32_e32 v[2:3], v3
	v_cvt_f64_f32_e32 v[9:10], v9
	v_mul_f64 v[4:5], v[4:5], s[6:7]
	v_addc_co_u32_e32 v1, vcc, v1, v14, vcc
	v_mul_f64 v[2:3], v[2:3], s[6:7]
	v_mul_f64 v[9:10], v[9:10], s[6:7]
	global_load_dword v7, v[7:8], off offset:2064
	v_and_or_b32 v4, v5, s14, v4
	v_lshrrev_b32_e32 v19, 8, v5
	v_bfe_u32 v20, v5, 20, 11
	v_and_or_b32 v2, v3, s14, v2
	v_cmp_ne_u32_e32 vcc, 0, v2
	v_lshrrev_b32_e32 v14, 8, v3
	v_bfe_u32 v18, v3, 20, 11
	v_and_or_b32 v9, v10, s14, v9
	v_cndmask_b32_e64 v2, 0, 1, vcc
	v_cmp_ne_u32_e32 vcc, 0, v4
	v_bfe_u32 v22, v10, 20, 11
	v_sub_u32_e32 v23, 0x3f1, v18
	v_cndmask_b32_e64 v4, 0, 1, vcc
	v_cmp_ne_u32_e32 vcc, 0, v9
	v_and_or_b32 v2, v14, s15, v2
	v_lshrrev_b32_e32 v21, 8, v10
	v_sub_u32_e32 v24, 0x3f1, v20
	v_cndmask_b32_e64 v9, 0, 1, vcc
	v_sub_u32_e32 v25, 0x3f1, v22
	v_med3_i32 v14, v23, 0, 13
	v_and_or_b32 v4, v19, s15, v4
	v_or_b32_e32 v23, 0x1000, v2
	v_add_u32_e32 v18, 0xfffffc10, v18
	v_med3_i32 v19, v24, 0, 13
	v_and_or_b32 v9, v21, s15, v9
	v_med3_i32 v21, v25, 0, 13
	v_cmp_ne_u32_e32 vcc, 0, v2
	v_or_b32_e32 v25, 0x1000, v4
	v_lshrrev_b32_e32 v28, v14, v23
	v_add_u32_e32 v20, 0xfffffc10, v20
	v_lshl_or_b32 v24, v18, 12, v2
	v_cndmask_b32_e64 v2, 0, 1, vcc
	v_cmp_ne_u32_e32 vcc, 0, v4
	v_lshrrev_b32_e32 v29, v19, v25
	v_lshlrev_b32_e32 v14, v14, v28
	v_lshl_or_b32 v26, v20, 12, v4
	v_cndmask_b32_e64 v4, 0, 1, vcc
	v_lshlrev_b32_e32 v19, v19, v29
	v_cmp_ne_u32_e32 vcc, v14, v23
	v_cndmask_b32_e64 v14, 0, 1, vcc
	v_cmp_ne_u32_e32 vcc, v19, v25
	v_cndmask_b32_e64 v19, 0, 1, vcc
	v_or_b32_e32 v14, v28, v14
	v_cmp_gt_i32_e32 vcc, 1, v18
	v_cndmask_b32_e32 v14, v24, v14, vcc
	v_or_b32_e32 v19, v29, v19
	v_cmp_gt_i32_e32 vcc, 1, v20
	v_and_b32_e32 v23, 7, v14
	v_cndmask_b32_e32 v19, v26, v19, vcc
	v_cmp_lt_i32_e32 vcc, 5, v23
	v_cmp_eq_u32_e64 s[0:1], 3, v23
	v_lshrrev_b32_e32 v14, 2, v14
	v_and_b32_e32 v24, 7, v19
	s_or_b64 vcc, s[0:1], vcc
	v_cmp_lt_i32_e64 s[2:3], 5, v24
	v_cmp_eq_u32_e64 s[4:5], 3, v24
	v_addc_co_u32_e32 v14, vcc, 0, v14, vcc
	v_lshrrev_b32_e32 v19, 2, v19
	s_or_b64 vcc, s[4:5], s[2:3]
	v_addc_co_u32_e32 v19, vcc, 0, v19, vcc
	v_cmp_gt_i32_e32 vcc, 31, v18
	v_cndmask_b32_e32 v14, v6, v14, vcc
	v_cmp_gt_i32_e32 vcc, 31, v20
	v_lshl_or_b32 v2, v2, 9, v6
	v_cndmask_b32_e32 v19, v6, v19, vcc
	v_cmp_eq_u32_e32 vcc, s16, v18
	v_lshrrev_b32_e32 v3, 16, v3
	v_or_b32_e32 v27, 0x1000, v9
	v_lshl_or_b32 v4, v4, 9, v6
	v_cndmask_b32_e32 v2, v14, v2, vcc
	v_cmp_eq_u32_e32 vcc, s16, v20
	v_lshrrev_b32_e32 v5, 16, v5
	v_lshrrev_b32_e32 v30, v21, v27
	v_cndmask_b32_e32 v4, v19, v4, vcc
	v_and_or_b32 v2, v3, s17, v2
	v_lshlrev_b32_e32 v21, v21, v30
	v_and_or_b32 v3, v5, s17, v4
	v_and_b32_e32 v2, 0xffff, v2
	v_mul_f16_sdwa v5, v13, v12 dst_sel:DWORD dst_unused:UNUSED_PAD src0_sel:DWORD src1_sel:WORD_1
	v_lshl_or_b32 v2, v3, 16, v2
	v_cmp_ne_u32_e32 vcc, v21, v27
	v_fma_f16 v5, v12, v17, -v5
	global_store_dword v[0:1], v2, off
	v_cndmask_b32_e64 v2, 0, 1, vcc
	v_add_u32_e32 v4, 0xfffffc10, v22
	v_cvt_f32_f16_e32 v5, v5
	v_or_b32_e32 v2, v30, v2
	v_lshl_or_b32 v3, v4, 12, v9
	v_cmp_gt_i32_e32 vcc, 1, v4
	v_cndmask_b32_e32 v2, v3, v2, vcc
	v_and_b32_e32 v3, 7, v2
	v_cmp_lt_i32_e32 vcc, 5, v3
	v_cmp_eq_u32_e64 s[0:1], 3, v3
	v_lshrrev_b32_e32 v12, 2, v2
	v_cvt_f64_f32_e32 v[2:3], v5
	s_or_b64 vcc, s[0:1], vcc
	v_addc_co_u32_e32 v5, vcc, 0, v12, vcc
	v_mul_f64 v[2:3], v[2:3], s[6:7]
	v_cmp_gt_i32_e32 vcc, 31, v4
	v_cndmask_b32_e32 v5, v6, v5, vcc
	v_cmp_ne_u32_e32 vcc, 0, v9
	v_cndmask_b32_e64 v9, 0, 1, vcc
	v_lshl_or_b32 v9, v9, 9, v6
	v_cmp_eq_u32_e32 vcc, s16, v4
	v_cndmask_b32_e32 v4, v5, v9, vcc
	v_and_or_b32 v2, v3, s14, v2
	v_lshrrev_b32_e32 v5, 16, v10
	v_cmp_ne_u32_e32 vcc, 0, v2
	v_and_or_b32 v9, v5, s17, v4
	v_cndmask_b32_e64 v2, 0, 1, vcc
	v_lshrrev_b32_e32 v4, 8, v3
	v_bfe_u32 v5, v3, 20, 11
	v_and_or_b32 v2, v4, s15, v2
	v_sub_u32_e32 v10, 0x3f1, v5
	v_or_b32_e32 v4, 0x1000, v2
	v_med3_i32 v10, v10, 0, 13
	v_lshrrev_b32_e32 v12, v10, v4
	v_lshlrev_b32_e32 v10, v10, v12
	v_cmp_ne_u32_e32 vcc, v10, v4
	v_cndmask_b32_e64 v4, 0, 1, vcc
	v_add_u32_e32 v5, 0xfffffc10, v5
	v_or_b32_e32 v4, v12, v4
	v_lshl_or_b32 v10, v5, 12, v2
	v_cmp_gt_i32_e32 vcc, 1, v5
	v_cndmask_b32_e32 v4, v10, v4, vcc
	v_and_b32_e32 v10, 7, v4
	v_cmp_lt_i32_e32 vcc, 5, v10
	v_cmp_eq_u32_e64 s[0:1], 3, v10
	s_waitcnt lgkmcnt(1)
	v_lshrrev_b32_e32 v10, 16, v15
	v_lshrrev_b32_e32 v4, 2, v4
	s_or_b64 vcc, s[0:1], vcc
	s_waitcnt vmcnt(2)
	v_mul_f16_sdwa v8, v10, v11 dst_sel:DWORD dst_unused:UNUSED_PAD src0_sel:DWORD src1_sel:WORD_1
	v_addc_co_u32_e32 v4, vcc, 0, v4, vcc
	v_fma_f16 v8, v15, v11, v8
	v_cmp_gt_i32_e32 vcc, 31, v5
	v_cvt_f32_f16_e32 v8, v8
	v_cndmask_b32_e32 v4, v6, v4, vcc
	v_cmp_ne_u32_e32 vcc, 0, v2
	v_cndmask_b32_e64 v2, 0, 1, vcc
	v_lshl_or_b32 v2, v2, 9, v6
	v_cmp_eq_u32_e32 vcc, s16, v5
	v_cndmask_b32_e32 v2, v4, v2, vcc
	v_cvt_f64_f32_e32 v[4:5], v8
	v_lshrrev_b32_e32 v3, 16, v3
	v_and_or_b32 v8, v3, s17, v2
	v_and_b32_e32 v9, 0xffff, v9
	v_mul_f64 v[2:3], v[4:5], s[6:7]
	v_lshl_or_b32 v4, v8, 16, v9
	v_mov_b32_e32 v8, s11
	v_add_co_u32_e32 v0, vcc, s10, v0
	v_addc_co_u32_e32 v1, vcc, v1, v8, vcc
	global_store_dword v[0:1], v4, off
	v_and_or_b32 v2, v3, s14, v2
	v_cmp_ne_u32_e32 vcc, 0, v2
	v_cndmask_b32_e64 v2, 0, 1, vcc
	v_lshrrev_b32_e32 v4, 8, v3
	v_bfe_u32 v5, v3, 20, 11
	v_and_or_b32 v2, v4, s15, v2
	v_sub_u32_e32 v9, 0x3f1, v5
	v_or_b32_e32 v4, 0x1000, v2
	v_med3_i32 v9, v9, 0, 13
	v_lshrrev_b32_e32 v12, v9, v4
	v_lshlrev_b32_e32 v9, v9, v12
	v_cmp_ne_u32_e32 vcc, v9, v4
	v_cndmask_b32_e64 v4, 0, 1, vcc
	v_or_b32_e32 v4, v12, v4
	v_mul_f16_sdwa v12, v15, v11 dst_sel:DWORD dst_unused:UNUSED_PAD src0_sel:DWORD src1_sel:WORD_1
	v_fma_f16 v10, v11, v10, -v12
	v_add_u32_e32 v9, 0xfffffc10, v5
	v_cvt_f32_f16_e32 v10, v10
	v_lshl_or_b32 v5, v9, 12, v2
	v_cmp_gt_i32_e32 vcc, 1, v9
	v_cndmask_b32_e32 v4, v5, v4, vcc
	v_and_b32_e32 v5, 7, v4
	v_cmp_lt_i32_e32 vcc, 5, v5
	v_cmp_eq_u32_e64 s[0:1], 3, v5
	v_lshrrev_b32_e32 v11, 2, v4
	v_cvt_f64_f32_e32 v[4:5], v10
	s_or_b64 vcc, s[0:1], vcc
	v_addc_co_u32_e32 v10, vcc, 0, v11, vcc
	v_mul_f64 v[4:5], v[4:5], s[6:7]
	v_cmp_gt_i32_e32 vcc, 31, v9
	v_cndmask_b32_e32 v10, v6, v10, vcc
	v_cmp_ne_u32_e32 vcc, 0, v2
	v_cndmask_b32_e64 v2, 0, 1, vcc
	v_lshl_or_b32 v2, v2, 9, v6
	v_cmp_eq_u32_e32 vcc, s16, v9
	v_cndmask_b32_e32 v2, v10, v2, vcc
	v_lshrrev_b32_e32 v3, 16, v3
	v_and_or_b32 v9, v3, s17, v2
	v_and_or_b32 v2, v5, s14, v4
	v_cmp_ne_u32_e32 vcc, 0, v2
	v_cndmask_b32_e64 v2, 0, 1, vcc
	v_lshrrev_b32_e32 v3, 8, v5
	v_bfe_u32 v4, v5, 20, 11
	v_and_or_b32 v2, v3, s15, v2
	v_sub_u32_e32 v10, 0x3f1, v4
	v_or_b32_e32 v3, 0x1000, v2
	v_med3_i32 v10, v10, 0, 13
	v_lshrrev_b32_e32 v11, v10, v3
	v_lshlrev_b32_e32 v10, v10, v11
	v_cmp_ne_u32_e32 vcc, v10, v3
	v_cndmask_b32_e64 v3, 0, 1, vcc
	v_add_u32_e32 v4, 0xfffffc10, v4
	v_or_b32_e32 v3, v11, v3
	v_lshl_or_b32 v10, v4, 12, v2
	v_cmp_gt_i32_e32 vcc, 1, v4
	v_cndmask_b32_e32 v3, v10, v3, vcc
	v_and_b32_e32 v10, 7, v3
	v_cmp_lt_i32_e32 vcc, 5, v10
	v_cmp_eq_u32_e64 s[0:1], 3, v10
	v_lshrrev_b32_e32 v3, 2, v3
	s_or_b64 vcc, s[0:1], vcc
	v_addc_co_u32_e32 v3, vcc, 0, v3, vcc
	v_cmp_gt_i32_e32 vcc, 31, v4
	s_waitcnt lgkmcnt(0)
	v_lshrrev_b32_e32 v11, 16, v16
	v_cndmask_b32_e32 v10, v6, v3, vcc
	s_waitcnt vmcnt(2)
	v_mul_f16_sdwa v3, v11, v7 dst_sel:DWORD dst_unused:UNUSED_PAD src0_sel:DWORD src1_sel:WORD_1
	v_fma_f16 v3, v16, v7, v3
	v_cvt_f32_f16_e32 v3, v3
	v_cmp_ne_u32_e32 vcc, 0, v2
	v_cndmask_b32_e64 v2, 0, 1, vcc
	v_lshl_or_b32 v12, v2, 9, v6
	v_cvt_f64_f32_e32 v[2:3], v3
	v_cmp_eq_u32_e32 vcc, s16, v4
	v_cndmask_b32_e32 v4, v10, v12, vcc
	v_lshrrev_b32_e32 v5, 16, v5
	v_mul_f64 v[2:3], v[2:3], s[6:7]
	v_add_co_u32_e32 v0, vcc, s10, v0
	v_and_or_b32 v4, v5, s17, v4
	v_and_b32_e32 v5, 0xffff, v9
	v_addc_co_u32_e32 v1, vcc, v1, v8, vcc
	v_lshl_or_b32 v4, v4, 16, v5
	v_and_or_b32 v2, v3, s14, v2
	v_cmp_ne_u32_e32 vcc, 0, v2
	global_store_dword v[0:1], v4, off
	v_cndmask_b32_e64 v2, 0, 1, vcc
	v_lshrrev_b32_e32 v4, 8, v3
	v_bfe_u32 v5, v3, 20, 11
	v_and_or_b32 v2, v4, s15, v2
	v_sub_u32_e32 v9, 0x3f1, v5
	v_or_b32_e32 v4, 0x1000, v2
	v_med3_i32 v9, v9, 0, 13
	v_lshrrev_b32_e32 v10, v9, v4
	v_lshlrev_b32_e32 v9, v9, v10
	v_cmp_ne_u32_e32 vcc, v9, v4
	v_cndmask_b32_e64 v4, 0, 1, vcc
	v_or_b32_e32 v4, v10, v4
	v_mul_f16_sdwa v10, v16, v7 dst_sel:DWORD dst_unused:UNUSED_PAD src0_sel:DWORD src1_sel:WORD_1
	v_fma_f16 v7, v7, v11, -v10
	v_add_u32_e32 v9, 0xfffffc10, v5
	v_cvt_f32_f16_e32 v7, v7
	v_lshl_or_b32 v5, v9, 12, v2
	v_cmp_gt_i32_e32 vcc, 1, v9
	v_cndmask_b32_e32 v4, v5, v4, vcc
	v_and_b32_e32 v5, 7, v4
	v_cmp_lt_i32_e32 vcc, 5, v5
	v_cmp_eq_u32_e64 s[0:1], 3, v5
	v_lshrrev_b32_e32 v10, 2, v4
	v_cvt_f64_f32_e32 v[4:5], v7
	s_or_b64 vcc, s[0:1], vcc
	v_addc_co_u32_e32 v7, vcc, 0, v10, vcc
	v_mul_f64 v[4:5], v[4:5], s[6:7]
	v_cmp_gt_i32_e32 vcc, 31, v9
	v_cndmask_b32_e32 v7, v6, v7, vcc
	v_cmp_ne_u32_e32 vcc, 0, v2
	v_cndmask_b32_e64 v2, 0, 1, vcc
	v_lshl_or_b32 v2, v2, 9, v6
	v_cmp_eq_u32_e32 vcc, s16, v9
	v_cndmask_b32_e32 v2, v7, v2, vcc
	v_lshrrev_b32_e32 v3, 16, v3
	v_and_or_b32 v2, v3, s17, v2
	v_and_or_b32 v3, v5, s14, v4
	v_cmp_ne_u32_e32 vcc, 0, v3
	v_cndmask_b32_e64 v3, 0, 1, vcc
	v_lshrrev_b32_e32 v4, 8, v5
	v_bfe_u32 v7, v5, 20, 11
	v_and_or_b32 v3, v4, s15, v3
	v_sub_u32_e32 v9, 0x3f1, v7
	v_or_b32_e32 v4, 0x1000, v3
	v_med3_i32 v9, v9, 0, 13
	v_lshrrev_b32_e32 v10, v9, v4
	v_lshlrev_b32_e32 v9, v9, v10
	v_cmp_ne_u32_e32 vcc, v9, v4
	v_cndmask_b32_e64 v4, 0, 1, vcc
	v_add_u32_e32 v7, 0xfffffc10, v7
	v_or_b32_e32 v4, v10, v4
	v_lshl_or_b32 v9, v7, 12, v3
	v_cmp_gt_i32_e32 vcc, 1, v7
	v_cndmask_b32_e32 v4, v9, v4, vcc
	v_and_b32_e32 v9, 7, v4
	v_cmp_lt_i32_e32 vcc, 5, v9
	v_cmp_eq_u32_e64 s[0:1], 3, v9
	v_lshrrev_b32_e32 v4, 2, v4
	s_or_b64 vcc, s[0:1], vcc
	v_addc_co_u32_e32 v4, vcc, 0, v4, vcc
	v_cmp_gt_i32_e32 vcc, 31, v7
	v_cndmask_b32_e32 v4, v6, v4, vcc
	v_cmp_ne_u32_e32 vcc, 0, v3
	v_cndmask_b32_e64 v3, 0, 1, vcc
	v_lshl_or_b32 v3, v3, 9, v6
	v_cmp_eq_u32_e32 vcc, s16, v7
	v_cndmask_b32_e32 v3, v4, v3, vcc
	v_lshrrev_b32_e32 v4, 16, v5
	v_and_or_b32 v3, v4, s17, v3
	v_and_b32_e32 v2, 0xffff, v2
	v_add_co_u32_e32 v0, vcc, s10, v0
	v_lshl_or_b32 v2, v3, 16, v2
	v_addc_co_u32_e32 v1, vcc, v1, v8, vcc
	global_store_dword v[0:1], v2, off
.LBB0_39:
	s_endpgm
	.section	.rodata,"a",@progbits
	.p2align	6, 0x0
	.amdhsa_kernel bluestein_single_fwd_len1584_dim1_half_op_CI_CI
		.amdhsa_group_segment_fixed_size 6336
		.amdhsa_private_segment_fixed_size 0
		.amdhsa_kernarg_size 104
		.amdhsa_user_sgpr_count 6
		.amdhsa_user_sgpr_private_segment_buffer 1
		.amdhsa_user_sgpr_dispatch_ptr 0
		.amdhsa_user_sgpr_queue_ptr 0
		.amdhsa_user_sgpr_kernarg_segment_ptr 1
		.amdhsa_user_sgpr_dispatch_id 0
		.amdhsa_user_sgpr_flat_scratch_init 0
		.amdhsa_user_sgpr_private_segment_size 0
		.amdhsa_uses_dynamic_stack 0
		.amdhsa_system_sgpr_private_segment_wavefront_offset 0
		.amdhsa_system_sgpr_workgroup_id_x 1
		.amdhsa_system_sgpr_workgroup_id_y 0
		.amdhsa_system_sgpr_workgroup_id_z 0
		.amdhsa_system_sgpr_workgroup_info 0
		.amdhsa_system_vgpr_workitem_id 0
		.amdhsa_next_free_vgpr 159
		.amdhsa_next_free_sgpr 32
		.amdhsa_reserve_vcc 1
		.amdhsa_reserve_flat_scratch 0
		.amdhsa_float_round_mode_32 0
		.amdhsa_float_round_mode_16_64 0
		.amdhsa_float_denorm_mode_32 3
		.amdhsa_float_denorm_mode_16_64 3
		.amdhsa_dx10_clamp 1
		.amdhsa_ieee_mode 1
		.amdhsa_fp16_overflow 0
		.amdhsa_exception_fp_ieee_invalid_op 0
		.amdhsa_exception_fp_denorm_src 0
		.amdhsa_exception_fp_ieee_div_zero 0
		.amdhsa_exception_fp_ieee_overflow 0
		.amdhsa_exception_fp_ieee_underflow 0
		.amdhsa_exception_fp_ieee_inexact 0
		.amdhsa_exception_int_div_zero 0
	.end_amdhsa_kernel
	.text
.Lfunc_end0:
	.size	bluestein_single_fwd_len1584_dim1_half_op_CI_CI, .Lfunc_end0-bluestein_single_fwd_len1584_dim1_half_op_CI_CI
                                        ; -- End function
	.section	.AMDGPU.csdata,"",@progbits
; Kernel info:
; codeLenInByte = 19848
; NumSgprs: 36
; NumVgprs: 159
; ScratchSize: 0
; MemoryBound: 0
; FloatMode: 240
; IeeeMode: 1
; LDSByteSize: 6336 bytes/workgroup (compile time only)
; SGPRBlocks: 4
; VGPRBlocks: 39
; NumSGPRsForWavesPerEU: 36
; NumVGPRsForWavesPerEU: 159
; Occupancy: 1
; WaveLimiterHint : 1
; COMPUTE_PGM_RSRC2:SCRATCH_EN: 0
; COMPUTE_PGM_RSRC2:USER_SGPR: 6
; COMPUTE_PGM_RSRC2:TRAP_HANDLER: 0
; COMPUTE_PGM_RSRC2:TGID_X_EN: 1
; COMPUTE_PGM_RSRC2:TGID_Y_EN: 0
; COMPUTE_PGM_RSRC2:TGID_Z_EN: 0
; COMPUTE_PGM_RSRC2:TIDIG_COMP_CNT: 0
	.type	__hip_cuid_4563b13cee461009,@object ; @__hip_cuid_4563b13cee461009
	.section	.bss,"aw",@nobits
	.globl	__hip_cuid_4563b13cee461009
__hip_cuid_4563b13cee461009:
	.byte	0                               ; 0x0
	.size	__hip_cuid_4563b13cee461009, 1

	.ident	"AMD clang version 19.0.0git (https://github.com/RadeonOpenCompute/llvm-project roc-6.4.0 25133 c7fe45cf4b819c5991fe208aaa96edf142730f1d)"
	.section	".note.GNU-stack","",@progbits
	.addrsig
	.addrsig_sym __hip_cuid_4563b13cee461009
	.amdgpu_metadata
---
amdhsa.kernels:
  - .args:
      - .actual_access:  read_only
        .address_space:  global
        .offset:         0
        .size:           8
        .value_kind:     global_buffer
      - .actual_access:  read_only
        .address_space:  global
        .offset:         8
        .size:           8
        .value_kind:     global_buffer
      - .actual_access:  read_only
        .address_space:  global
        .offset:         16
        .size:           8
        .value_kind:     global_buffer
      - .actual_access:  read_only
        .address_space:  global
        .offset:         24
        .size:           8
        .value_kind:     global_buffer
      - .actual_access:  read_only
        .address_space:  global
        .offset:         32
        .size:           8
        .value_kind:     global_buffer
      - .offset:         40
        .size:           8
        .value_kind:     by_value
      - .address_space:  global
        .offset:         48
        .size:           8
        .value_kind:     global_buffer
      - .address_space:  global
        .offset:         56
        .size:           8
        .value_kind:     global_buffer
      - .address_space:  global
        .offset:         64
        .size:           8
        .value_kind:     global_buffer
      - .address_space:  global
        .offset:         72
        .size:           8
        .value_kind:     global_buffer
      - .offset:         80
        .size:           4
        .value_kind:     by_value
      - .address_space:  global
        .offset:         88
        .size:           8
        .value_kind:     global_buffer
      - .address_space:  global
        .offset:         96
        .size:           8
        .value_kind:     global_buffer
    .group_segment_fixed_size: 6336
    .kernarg_segment_align: 8
    .kernarg_segment_size: 104
    .language:       OpenCL C
    .language_version:
      - 2
      - 0
    .max_flat_workgroup_size: 176
    .name:           bluestein_single_fwd_len1584_dim1_half_op_CI_CI
    .private_segment_fixed_size: 0
    .sgpr_count:     36
    .sgpr_spill_count: 0
    .symbol:         bluestein_single_fwd_len1584_dim1_half_op_CI_CI.kd
    .uniform_work_group_size: 1
    .uses_dynamic_stack: false
    .vgpr_count:     159
    .vgpr_spill_count: 0
    .wavefront_size: 64
amdhsa.target:   amdgcn-amd-amdhsa--gfx906
amdhsa.version:
  - 1
  - 2
...

	.end_amdgpu_metadata
